;; amdgpu-corpus repo=ROCm/rocFFT kind=compiled arch=gfx1100 opt=O3
	.text
	.amdgcn_target "amdgcn-amd-amdhsa--gfx1100"
	.amdhsa_code_object_version 6
	.protected	bluestein_single_back_len3000_dim1_half_op_CI_CI ; -- Begin function bluestein_single_back_len3000_dim1_half_op_CI_CI
	.globl	bluestein_single_back_len3000_dim1_half_op_CI_CI
	.p2align	8
	.type	bluestein_single_back_len3000_dim1_half_op_CI_CI,@function
bluestein_single_back_len3000_dim1_half_op_CI_CI: ; @bluestein_single_back_len3000_dim1_half_op_CI_CI
; %bb.0:
	s_load_b128 s[16:19], s[0:1], 0x28
	v_mul_u32_u24_e32 v1, 0x290, v0
	s_mov_b32 s2, exec_lo
	v_mov_b32_e32 v3, 0
	s_delay_alu instid0(VALU_DEP_2) | instskip(NEXT) | instid1(VALU_DEP_1)
	v_lshrrev_b32_e32 v1, 16, v1
	v_add_nc_u32_e32 v2, s15, v1
	s_waitcnt lgkmcnt(0)
	s_delay_alu instid0(VALU_DEP_1)
	v_cmpx_gt_u64_e64 s[16:17], v[2:3]
	s_cbranch_execz .LBB0_2
; %bb.1:
	s_clause 0x1
	s_load_b128 s[8:11], s[0:1], 0x18
	s_load_b128 s[4:7], s[0:1], 0x0
	v_mul_lo_u16 v1, 0x64, v1
	s_load_b64 s[0:1], s[0:1], 0x38
	v_mov_b32_e32 v6, v2
	s_delay_alu instid0(VALU_DEP_2) | instskip(SKIP_2) | instid1(VALU_DEP_1)
	v_sub_nc_u16 v28, v0, v1
	scratch_store_b64 off, v[6:7], off offset:216 ; 8-byte Folded Spill
	v_and_b32_e32 v151, 0xffff, v28
	v_lshlrev_b32_e32 v148, 2, v151
	s_waitcnt lgkmcnt(0)
	s_load_b128 s[12:15], s[8:9], 0x0
	global_load_b32 v30, v148, s[4:5]
	v_add_nc_u32_e32 v127, 0x400, v148
	v_add_nc_u32_e32 v149, 0x1400, v148
	;; [unrolled: 1-line block ×10, first 2 shown]
	s_waitcnt lgkmcnt(0)
	v_mad_u64_u32 v[0:1], null, s14, v2, 0
	v_mad_u64_u32 v[2:3], null, s12, v151, 0
	s_mul_i32 s3, s13, 0x4b0
	s_mul_hi_u32 s8, s12, 0x4b0
	s_mul_i32 s2, s12, 0x4b0
	s_add_i32 s3, s8, s3
	v_add_co_u32 v73, s8, s4, v148
	s_delay_alu instid0(VALU_DEP_2) | instskip(SKIP_2) | instid1(VALU_DEP_2)
	v_mad_u64_u32 v[4:5], null, s15, v6, v[1:2]
	v_add_co_ci_u32_e64 v74, null, s5, 0, s8
	s_mul_i32 s8, s13, 0xffffd760
	v_mad_u64_u32 v[5:6], null, s13, v151, v[3:4]
	v_mov_b32_e32 v1, v4
	s_delay_alu instid0(VALU_DEP_1) | instskip(NEXT) | instid1(VALU_DEP_3)
	v_lshlrev_b64 v[0:1], 2, v[0:1]
	v_mov_b32_e32 v3, v5
	s_delay_alu instid0(VALU_DEP_1) | instskip(NEXT) | instid1(VALU_DEP_3)
	v_lshlrev_b64 v[2:3], 2, v[2:3]
	v_add_co_u32 v0, vcc_lo, s18, v0
	s_delay_alu instid0(VALU_DEP_4) | instskip(NEXT) | instid1(VALU_DEP_2)
	v_add_co_ci_u32_e32 v1, vcc_lo, s19, v1, vcc_lo
	v_add_co_u32 v0, vcc_lo, v0, v2
	s_delay_alu instid0(VALU_DEP_2) | instskip(NEXT) | instid1(VALU_DEP_2)
	v_add_co_ci_u32_e32 v1, vcc_lo, v1, v3, vcc_lo
	v_add_co_u32 v2, vcc_lo, v0, s2
	s_delay_alu instid0(VALU_DEP_2)
	v_add_co_ci_u32_e32 v3, vcc_lo, s3, v1, vcc_lo
	s_clause 0x1
	global_load_b32 v24, v148, s[4:5] offset:1200
	global_load_b32 v23, v148, s[4:5] offset:2400
	s_clause 0x1
	global_load_b32 v13, v[0:1], off
	global_load_b32 v12, v[2:3], off
	v_add_co_u32 v0, vcc_lo, v2, s2
	v_add_co_ci_u32_e32 v1, vcc_lo, s3, v3, vcc_lo
	global_load_b32 v20, v148, s[4:5] offset:3600
	v_add_co_u32 v2, vcc_lo, v0, s2
	v_add_co_ci_u32_e32 v3, vcc_lo, s3, v1, vcc_lo
	s_clause 0x1
	global_load_b32 v14, v[0:1], off
	global_load_b32 v15, v[2:3], off
	v_add_co_u32 v0, vcc_lo, 0x1000, v73
	v_add_co_ci_u32_e32 v1, vcc_lo, 0, v74, vcc_lo
	v_add_co_u32 v2, vcc_lo, v2, s2
	v_add_co_ci_u32_e32 v3, vcc_lo, s3, v3, vcc_lo
	global_load_b32 v21, v[0:1], off offset:704
	global_load_b32 v16, v[2:3], off
	v_add_co_u32 v2, vcc_lo, v2, s2
	v_add_co_ci_u32_e32 v3, vcc_lo, s3, v3, vcc_lo
	s_clause 0x2
	global_load_b32 v22, v148, s[4:5] offset:400
	global_load_b32 v35, v148, s[4:5] offset:1600
	;; [unrolled: 1-line block ×3, first 2 shown]
	v_add_co_u32 v4, vcc_lo, v2, s2
	v_add_co_ci_u32_e32 v5, vcc_lo, s3, v3, vcc_lo
	s_clause 0x2
	global_load_b32 v26, v148, s[4:5] offset:2000
	global_load_b32 v41, v148, s[4:5] offset:4000
	;; [unrolled: 1-line block ×3, first 2 shown]
	v_add_co_u32 v6, vcc_lo, v4, s2
	v_add_co_ci_u32_e32 v7, vcc_lo, s3, v5, vcc_lo
	global_load_b32 v38, v148, s[4:5] offset:800
	v_add_co_u32 v8, vcc_lo, v6, s2
	v_add_co_ci_u32_e32 v9, vcc_lo, s3, v7, vcc_lo
	s_sub_i32 s4, s8, s12
	s_delay_alu instid0(VALU_DEP_2) | instskip(NEXT) | instid1(VALU_DEP_2)
	v_add_co_u32 v10, vcc_lo, v8, s2
	v_add_co_ci_u32_e32 v11, vcc_lo, s3, v9, vcc_lo
	global_load_b32 v19, v[2:3], off
	v_mad_u64_u32 v[17:18], null, 0xffffd760, s12, v[10:11]
	s_delay_alu instid0(VALU_DEP_1)
	v_add_nc_u32_e32 v18, s4, v18
	global_load_b32 v4, v[4:5], off
	global_load_b32 v5, v[6:7], off
	;; [unrolled: 1-line block ×5, first 2 shown]
	v_add_co_u32 v2, vcc_lo, v17, s2
	s_clause 0x1
	global_load_b32 v42, v[0:1], off offset:1104
	global_load_b32 v39, v[0:1], off offset:2304
	v_add_co_ci_u32_e32 v3, vcc_lo, s3, v18, vcc_lo
	v_add_co_u32 v60, vcc_lo, 0x2000, v73
	v_add_co_ci_u32_e32 v61, vcc_lo, 0, v74, vcc_lo
	s_waitcnt vmcnt(24)
	v_lshrrev_b32_e32 v29, 16, v30
	scratch_store_b32 off, v29, off offset:240 ; 4-byte Folded Spill
	s_waitcnt vmcnt(22)
	v_dual_mov_b32 v27, v24 :: v_dual_mov_b32 v24, v23
	s_waitcnt vmcnt(21)
	v_lshrrev_b32_e32 v9, 16, v13
	v_mul_f16_e32 v10, v29, v13
	s_waitcnt vmcnt(20)
	v_lshrrev_b32_e32 v11, 16, v12
	v_lshrrev_b32_e32 v33, 16, v27
	;; [unrolled: 1-line block ×3, first 2 shown]
	v_mul_f16_e32 v17, v29, v9
	s_waitcnt vmcnt(19)
	v_mov_b32_e32 v23, v20
	v_fma_f16 v9, v30, v9, -v10
	v_mul_f16_e32 v18, v33, v12
	v_mul_f16_e32 v10, v33, v11
	v_fmac_f16_e32 v17, v30, v13
	v_lshrrev_b32_e32 v29, 16, v23
	s_waitcnt vmcnt(18)
	v_lshrrev_b32_e32 v13, 16, v14
	v_fma_f16 v11, v27, v11, -v18
	v_mul_f16_e32 v18, v31, v14
	v_fmac_f16_e32 v10, v27, v12
	s_waitcnt vmcnt(17)
	v_lshrrev_b32_e32 v12, 16, v15
	v_pack_b32_f16 v9, v17, v9
	v_mul_f16_e32 v17, v29, v15
	v_mul_f16_e32 v20, v31, v13
	v_fma_f16 v13, v24, v13, -v18
	v_mul_f16_e32 v18, v29, v12
	s_clause 0x1
	scratch_store_b32 off, v23, off offset:212
	scratch_store_b32 off, v31, off offset:224
	v_fma_f16 v12, v23, v12, -v17
	s_waitcnt vmcnt(16)
	v_lshrrev_b32_e32 v17, 16, v21
	v_fmac_f16_e32 v20, v24, v14
	v_fmac_f16_e32 v18, v23, v15
	s_waitcnt vmcnt(15)
	v_lshrrev_b32_e32 v14, 16, v16
	s_clause 0x3
	scratch_store_b32 off, v30, off offset:244
	scratch_store_b32 off, v27, off offset:236
	;; [unrolled: 1-line block ×4, first 2 shown]
	v_mul_f16_e32 v15, v17, v16
	scratch_store_b32 off, v29, off offset:208 ; 4-byte Folded Spill
	s_clause 0x2
	global_load_b32 v30, v[0:1], off offset:2704
	global_load_b32 v31, v[0:1], off offset:1504
	;; [unrolled: 1-line block ×3, first 2 shown]
	s_clause 0x1
	scratch_store_b32 off, v21, off offset:200
	scratch_store_b32 off, v17, off offset:204
	v_fma_f16 v15, v21, v14, -v15
	v_mul_f16_e32 v14, v17, v14
	v_pack_b32_f16 v10, v10, v11
	v_pack_b32_f16 v11, v20, v13
	;; [unrolled: 1-line block ×3, first 2 shown]
	s_waitcnt vmcnt(16)
	v_lshrrev_b32_e32 v37, 16, v35
	v_fmac_f16_e32 v14, v21, v16
	global_load_b32 v21, v[0:1], off offset:1904
	s_waitcnt vmcnt(11)
	v_lshrrev_b32_e32 v16, 16, v19
	v_pack_b32_f16 v13, v14, v15
	s_waitcnt vmcnt(10)
	v_lshrrev_b32_e32 v15, 16, v4
	s_waitcnt vmcnt(0)
	v_lshrrev_b32_e32 v23, 16, v21
	s_delay_alu instid0(VALU_DEP_1) | instskip(NEXT) | instid1(VALU_DEP_1)
	v_mul_f16_e32 v17, v23, v19
	v_fma_f16 v17, v21, v16, -v17
	v_mul_f16_e32 v16, v23, v16
	s_delay_alu instid0(VALU_DEP_1) | instskip(NEXT) | instid1(VALU_DEP_1)
	v_fmac_f16_e32 v16, v21, v19
	v_pack_b32_f16 v14, v16, v17
	global_load_b32 v17, v[0:1], off offset:3104
	s_waitcnt vmcnt(0)
	v_lshrrev_b32_e32 v18, 16, v17
	s_clause 0x1
	scratch_store_b32 off, v23, off offset:196
	scratch_store_b32 off, v18, off offset:188
	v_mul_f16_e32 v16, v18, v4
	s_delay_alu instid0(VALU_DEP_1)
	v_fma_f16 v16, v17, v15, -v16
	v_mul_f16_e32 v15, v18, v15
	global_load_b32 v18, v[60:61], off offset:208
	s_clause 0x1
	scratch_store_b32 off, v21, off offset:192
	scratch_store_b32 off, v17, off offset:184
	v_fmac_f16_e32 v15, v17, v4
	v_lshrrev_b32_e32 v4, 16, v5
	s_waitcnt vmcnt(0)
	scratch_store_b32 off, v18, off offset:176 ; 4-byte Folded Spill
	v_lshrrev_b32_e32 v19, 16, v18
	s_clause 0x4
	global_load_b32 v36, v[60:61], off offset:608
	global_load_b32 v40, v[60:61], off offset:1808
	;; [unrolled: 1-line block ×5, first 2 shown]
	v_mul_f16_e32 v17, v19, v5
	scratch_store_b32 off, v19, off offset:180 ; 4-byte Folded Spill
	v_fma_f16 v17, v18, v4, -v17
	v_mul_f16_e32 v4, v19, v4
	global_load_b32 v19, v[60:61], off offset:1408
	v_fmac_f16_e32 v4, v18, v5
	v_lshrrev_b32_e32 v5, 16, v6
	s_delay_alu instid0(VALU_DEP_2)
	v_pack_b32_f16 v4, v4, v17
	s_waitcnt vmcnt(0)
	v_lshrrev_b32_e32 v20, 16, v19
	s_clause 0x1
	scratch_store_b32 off, v19, off offset:168
	scratch_store_b32 off, v20, off offset:172
	v_mul_f16_e32 v18, v20, v6
	s_delay_alu instid0(VALU_DEP_1) | instskip(SKIP_4) | instid1(VALU_DEP_2)
	v_fma_f16 v18, v19, v5, -v18
	v_mul_f16_e32 v5, v20, v5
	global_load_b32 v20, v[60:61], off offset:2608
	v_fmac_f16_e32 v5, v19, v6
	v_lshrrev_b32_e32 v6, 16, v7
	v_pack_b32_f16 v5, v5, v18
	s_waitcnt vmcnt(0)
	v_lshrrev_b32_e32 v21, 16, v20
	s_clause 0x1
	scratch_store_b32 off, v20, off offset:152
	scratch_store_b32 off, v21, off offset:156
	v_mul_f16_e32 v19, v21, v7
	s_delay_alu instid0(VALU_DEP_1)
	v_fma_f16 v19, v20, v6, -v19
	v_mul_f16_e32 v6, v21, v6
	v_lshrrev_b32_e32 v21, 16, v22
	scratch_store_b32 off, v22, off offset:160 ; 4-byte Folded Spill
	v_fmac_f16_e32 v6, v20, v7
	scratch_store_b32 off, v21, off offset:164 ; 4-byte Folded Spill
	v_lshrrev_b32_e32 v7, 16, v8
	v_mul_f16_e32 v20, v21, v8
	v_pack_b32_f16 v6, v6, v19
	s_delay_alu instid0(VALU_DEP_2) | instskip(SKIP_1) | instid1(VALU_DEP_1)
	v_fma_f16 v20, v22, v7, -v20
	v_mul_f16_e32 v7, v21, v7
	v_fmac_f16_e32 v7, v22, v8
	v_pack_b32_f16 v8, v15, v16
	s_delay_alu instid0(VALU_DEP_2)
	v_pack_b32_f16 v7, v7, v20
	ds_store_b32 v148, v10 offset:1200
	ds_store_b32 v148, v11 offset:2400
	;; [unrolled: 1-line block ×9, first 2 shown]
	ds_store_2addr_b32 v148, v9, v7 offset1:100
	v_add_co_u32 v4, vcc_lo, v2, s2
	v_add_co_ci_u32_e32 v5, vcc_lo, s3, v3, vcc_lo
	global_load_b32 v24, v[2:3], off
	v_add_co_u32 v2, vcc_lo, v4, s2
	v_add_co_ci_u32_e32 v3, vcc_lo, s3, v5, vcc_lo
	s_clause 0x1
	scratch_store_b32 off, v35, off offset:136
	scratch_store_b32 off, v37, off offset:140
	v_add_co_u32 v6, vcc_lo, v2, s2
	v_add_co_ci_u32_e32 v7, vcc_lo, s3, v3, vcc_lo
	scratch_store_b32 off, v42, off offset:128 ; 4-byte Folded Spill
	v_add_co_u32 v8, vcc_lo, v6, s2
	v_add_co_ci_u32_e32 v9, vcc_lo, s3, v7, vcc_lo
	global_load_b32 v6, v[6:7], off
	v_add_co_u32 v10, vcc_lo, v8, s2
	v_add_co_ci_u32_e32 v11, vcc_lo, s3, v9, vcc_lo
	s_delay_alu instid0(VALU_DEP_2) | instskip(NEXT) | instid1(VALU_DEP_2)
	v_add_co_u32 v12, vcc_lo, v10, s2
	v_add_co_ci_u32_e32 v13, vcc_lo, s3, v11, vcc_lo
	s_delay_alu instid0(VALU_DEP_2) | instskip(NEXT) | instid1(VALU_DEP_2)
	;; [unrolled: 3-line block ×3, first 2 shown]
	v_add_co_u32 v16, vcc_lo, v14, s2
	v_add_co_ci_u32_e32 v17, vcc_lo, s3, v15, vcc_lo
	s_delay_alu instid0(VALU_DEP_1) | instskip(NEXT) | instid1(VALU_DEP_1)
	v_mad_u64_u32 v[18:19], null, 0xffffd760, s12, v[16:17]
	v_add_nc_u32_e32 v19, s4, v19
	s_delay_alu instid0(VALU_DEP_2) | instskip(NEXT) | instid1(VALU_DEP_2)
	v_add_co_u32 v20, vcc_lo, v18, s2
	v_add_co_ci_u32_e32 v21, vcc_lo, s3, v19, vcc_lo
	s_delay_alu instid0(VALU_DEP_2)
	v_add_co_u32 v22, vcc_lo, v20, s2
	global_load_b32 v20, v[20:21], off
	v_add_co_ci_u32_e32 v23, vcc_lo, s3, v21, vcc_lo
	s_waitcnt vmcnt(2)
	v_lshrrev_b32_e32 v21, 16, v24
	v_mul_f16_e32 v25, v37, v24
	s_delay_alu instid0(VALU_DEP_1) | instskip(SKIP_1) | instid1(VALU_DEP_1)
	v_fma_f16 v25, v35, v21, -v25
	v_mul_f16_e32 v21, v37, v21
	v_fmac_f16_e32 v21, v35, v24
	v_mov_b32_e32 v35, v26
	s_delay_alu instid0(VALU_DEP_1)
	v_lshrrev_b32_e32 v37, 16, v35
	s_clause 0x1
	scratch_store_b32 off, v35, off offset:64
	scratch_store_b32 off, v37, off offset:68
	s_waitcnt vmcnt(0)
	v_lshrrev_b32_e32 v24, 16, v20
	v_mul_f16_e32 v26, v37, v20
	s_delay_alu instid0(VALU_DEP_1) | instskip(SKIP_1) | instid1(VALU_DEP_1)
	v_fma_f16 v26, v35, v24, -v26
	v_mul_f16_e32 v24, v37, v24
	v_fmac_f16_e32 v24, v35, v20
	v_pack_b32_f16 v20, v21, v25
	v_lshrrev_b32_e32 v25, 16, v32
	s_delay_alu instid0(VALU_DEP_3)
	v_pack_b32_f16 v21, v24, v26
	v_lshrrev_b32_e32 v24, 16, v43
	scratch_store_b32 off, v25, off offset:60 ; 4-byte Folded Spill
	ds_store_2addr_b32 v127, v20, v21 offset0:144 offset1:244
	global_load_b32 v20, v[4:5], off
	global_load_b32 v21, v[22:23], off
	v_add_co_u32 v4, vcc_lo, v22, s2
	v_add_co_ci_u32_e32 v5, vcc_lo, s3, v23, vcc_lo
	scratch_store_b32 off, v24, off offset:148 ; 4-byte Folded Spill
	s_waitcnt vmcnt(1)
	v_lshrrev_b32_e32 v22, 16, v20
	v_mul_f16_e32 v23, v24, v20
	s_delay_alu instid0(VALU_DEP_1) | instskip(SKIP_3) | instid1(VALU_DEP_2)
	v_fma_f16 v23, v43, v22, -v23
	v_mul_f16_e32 v22, v24, v22
	s_waitcnt vmcnt(0)
	v_mul_f16_e32 v24, v25, v21
	v_fmac_f16_e32 v22, v43, v20
	v_lshrrev_b32_e32 v20, 16, v21
	s_delay_alu instid0(VALU_DEP_1) | instskip(SKIP_1) | instid1(VALU_DEP_1)
	v_fma_f16 v24, v32, v20, -v24
	v_mul_f16_e32 v20, v25, v20
	v_fmac_f16_e32 v20, v32, v21
	v_pack_b32_f16 v21, v22, v23
	v_add_nc_u32_e32 v22, 0xa00, v148
	v_lshrrev_b32_e32 v23, 16, v33
	s_delay_alu instid0(VALU_DEP_4)
	v_pack_b32_f16 v20, v20, v24
	scratch_store_b32 off, v23, off offset:52 ; 4-byte Folded Spill
	ds_store_2addr_b32 v22, v21, v20 offset0:60 offset1:160
	global_load_b32 v20, v[2:3], off
	v_add_co_u32 v2, vcc_lo, v4, s2
	global_load_b32 v4, v[4:5], off
	v_lshrrev_b32_e32 v22, 16, v41
	v_add_co_ci_u32_e32 v3, vcc_lo, s3, v5, vcc_lo
	s_clause 0x1
	scratch_store_b32 off, v43, off offset:144
	scratch_store_b32 off, v22, off offset:124
	s_waitcnt vmcnt(1)
	v_lshrrev_b32_e32 v5, 16, v20
	v_mul_f16_e32 v21, v22, v20
	s_delay_alu instid0(VALU_DEP_1) | instskip(SKIP_3) | instid1(VALU_DEP_2)
	v_fma_f16 v21, v41, v5, -v21
	v_mul_f16_e32 v5, v22, v5
	s_waitcnt vmcnt(0)
	v_mul_f16_e32 v22, v23, v4
	v_fmac_f16_e32 v5, v41, v20
	v_lshrrev_b32_e32 v20, 16, v4
	s_delay_alu instid0(VALU_DEP_1) | instskip(SKIP_1) | instid1(VALU_DEP_1)
	v_fma_f16 v22, v33, v20, -v22
	v_mul_f16_e32 v20, v23, v20
	v_fmac_f16_e32 v20, v33, v4
	v_pack_b32_f16 v4, v5, v21
	v_lshrrev_b32_e32 v21, 16, v31
	s_delay_alu instid0(VALU_DEP_3)
	v_pack_b32_f16 v5, v20, v22
	v_lshrrev_b32_e32 v20, 16, v42
	scratch_store_b32 off, v21, off offset:44 ; 4-byte Folded Spill
	ds_store_2addr_b32 v186, v4, v5 offset0:104 offset1:204
	v_add_co_u32 v4, vcc_lo, v2, s2
	global_load_b32 v2, v[2:3], off
	v_add_co_ci_u32_e32 v5, vcc_lo, s3, v3, vcc_lo
	v_lshrrev_b32_e32 v3, 16, v6
	v_mul_f16_e32 v7, v20, v6
	scratch_store_b32 off, v20, off offset:132 ; 4-byte Folded Spill
	v_fma_f16 v7, v42, v3, -v7
	v_mul_f16_e32 v3, v20, v3
	s_delay_alu instid0(VALU_DEP_1) | instskip(SKIP_3) | instid1(VALU_DEP_1)
	v_fmac_f16_e32 v3, v42, v6
	s_waitcnt vmcnt(0)
	v_lshrrev_b32_e32 v6, 16, v2
	v_mul_f16_e32 v20, v21, v2
	v_fma_f16 v20, v31, v6, -v20
	v_mul_f16_e32 v6, v21, v6
	s_delay_alu instid0(VALU_DEP_1) | instskip(SKIP_1) | instid1(VALU_DEP_2)
	v_fmac_f16_e32 v6, v31, v2
	v_pack_b32_f16 v2, v3, v7
	v_pack_b32_f16 v3, v6, v20
	global_load_b32 v6, v[8:9], off
	v_lshrrev_b32_e32 v8, 16, v39
	v_lshrrev_b32_e32 v9, 16, v30
	scratch_store_b32 off, v39, off offset:104 ; 4-byte Folded Spill
	ds_store_2addr_b32 v149, v2, v3 offset0:20 offset1:120
	v_add_co_u32 v2, vcc_lo, v4, s2
	scratch_store_b32 off, v8, off offset:108 ; 4-byte Folded Spill
	global_load_b32 v4, v[4:5], off
	v_add_co_ci_u32_e32 v3, vcc_lo, s3, v5, vcc_lo
	s_clause 0x5
	scratch_store_b32 off, v41, off offset:120
	scratch_store_b32 off, v30, off offset:32
	;; [unrolled: 1-line block ×6, first 2 shown]
	s_waitcnt vmcnt(1)
	v_lshrrev_b32_e32 v5, 16, v6
	v_mul_f16_e32 v7, v8, v6
	s_delay_alu instid0(VALU_DEP_1) | instskip(SKIP_3) | instid1(VALU_DEP_2)
	v_fma_f16 v7, v39, v5, -v7
	v_mul_f16_e32 v5, v8, v5
	s_waitcnt vmcnt(0)
	v_mul_f16_e32 v8, v9, v4
	v_fmac_f16_e32 v5, v39, v6
	v_lshrrev_b32_e32 v6, 16, v4
	s_delay_alu instid0(VALU_DEP_1) | instskip(SKIP_1) | instid1(VALU_DEP_1)
	v_fma_f16 v8, v30, v6, -v8
	v_mul_f16_e32 v6, v9, v6
	v_fmac_f16_e32 v6, v30, v4
	v_pack_b32_f16 v4, v5, v7
	s_delay_alu instid0(VALU_DEP_2)
	v_pack_b32_f16 v5, v6, v8
	ds_store_2addr_b32 v84, v4, v5 offset0:64 offset1:164
	global_load_b32 v4, v[10:11], off
	s_clause 0x1
	global_load_b32 v6, v[0:1], off offset:3504
	global_load_b32 v7, v[0:1], off offset:3904
	v_add_co_u32 v0, vcc_lo, v2, s2
	global_load_b32 v2, v[2:3], off
	v_add_co_ci_u32_e32 v1, vcc_lo, s3, v3, vcc_lo
	scratch_store_b32 off, v40, off offset:96 ; 4-byte Folded Spill
	s_waitcnt vmcnt(3)
	v_lshrrev_b32_e32 v3, 16, v4
	s_waitcnt vmcnt(2)
	v_lshrrev_b32_e32 v8, 16, v6
	s_clause 0x1
	scratch_store_b32 off, v6, off offset:112
	scratch_store_b32 off, v8, off offset:116
	v_mul_f16_e32 v5, v8, v4
	s_delay_alu instid0(VALU_DEP_1) | instskip(SKIP_3) | instid1(VALU_DEP_2)
	v_fma_f16 v5, v6, v3, -v5
	v_mul_f16_e32 v3, v8, v3
	s_waitcnt vmcnt(1)
	v_lshrrev_b32_e32 v8, 16, v7
	v_fmac_f16_e32 v3, v6, v4
	s_waitcnt vmcnt(0)
	v_lshrrev_b32_e32 v4, 16, v2
	s_delay_alu instid0(VALU_DEP_3) | instskip(NEXT) | instid1(VALU_DEP_1)
	v_mul_f16_e32 v6, v8, v2
	v_fma_f16 v6, v7, v4, -v6
	v_mul_f16_e32 v4, v8, v4
	s_delay_alu instid0(VALU_DEP_1) | instskip(SKIP_1) | instid1(VALU_DEP_2)
	v_fmac_f16_e32 v4, v7, v2
	v_pack_b32_f16 v2, v3, v5
	v_pack_b32_f16 v3, v4, v6
	global_load_b32 v4, v[12:13], off
	v_lshrrev_b32_e32 v6, 16, v36
	scratch_store_b32 off, v7, off offset:24 ; 4-byte Folded Spill
	v_lshrrev_b32_e32 v7, 16, v29
	ds_store_2addr_b32 v144, v2, v3 offset0:108 offset1:208
	v_add_co_u32 v2, vcc_lo, v0, s2
	scratch_store_b32 off, v6, off offset:92 ; 4-byte Folded Spill
	global_load_b32 v0, v[0:1], off
	v_add_co_ci_u32_e32 v3, vcc_lo, s3, v1, vcc_lo
	scratch_store_b32 off, v7, off offset:20 ; 4-byte Folded Spill
	s_waitcnt vmcnt(1)
	v_lshrrev_b32_e32 v1, 16, v4
	v_mul_f16_e32 v5, v6, v4
	s_delay_alu instid0(VALU_DEP_1) | instskip(SKIP_3) | instid1(VALU_DEP_2)
	v_fma_f16 v5, v36, v1, -v5
	v_mul_f16_e32 v1, v6, v1
	s_waitcnt vmcnt(0)
	v_mul_f16_e32 v6, v7, v0
	v_fmac_f16_e32 v1, v36, v4
	v_lshrrev_b32_e32 v4, 16, v0
	s_delay_alu instid0(VALU_DEP_1)
	v_fma_f16 v6, v29, v4, -v6
	v_mul_f16_e32 v4, v7, v4
	v_lshrrev_b32_e32 v7, 16, v27
	s_clause 0x2
	scratch_store_b32 off, v27, off offset:8
	scratch_store_b32 off, v8, off offset:28
	;; [unrolled: 1-line block ×3, first 2 shown]
	v_fmac_f16_e32 v4, v29, v0
	scratch_store_b32 off, v7, off offset:12 ; 4-byte Folded Spill
	v_pack_b32_f16 v0, v1, v5
	v_pack_b32_f16 v1, v4, v6
	global_load_b32 v4, v[14:15], off
	v_lshrrev_b32_e32 v6, 16, v40
	scratch_store_b32 off, v36, off offset:88 ; 4-byte Folded Spill
	ds_store_2addr_b32 v183, v0, v1 offset0:152 offset1:252
	v_add_co_u32 v0, vcc_lo, v2, s2
	scratch_store_b32 off, v6, off offset:100 ; 4-byte Folded Spill
	global_load_b32 v2, v[2:3], off
	v_add_co_ci_u32_e32 v1, vcc_lo, s3, v3, vcc_lo
	s_waitcnt vmcnt(1)
	v_lshrrev_b32_e32 v3, 16, v4
	v_mul_f16_e32 v5, v6, v4
	s_delay_alu instid0(VALU_DEP_1) | instskip(SKIP_3) | instid1(VALU_DEP_2)
	v_fma_f16 v5, v40, v3, -v5
	v_mul_f16_e32 v3, v6, v3
	s_waitcnt vmcnt(0)
	v_mul_f16_e32 v6, v7, v2
	v_fmac_f16_e32 v3, v40, v4
	v_lshrrev_b32_e32 v4, 16, v2
	s_delay_alu instid0(VALU_DEP_1) | instskip(SKIP_1) | instid1(VALU_DEP_1)
	v_fma_f16 v6, v27, v4, -v6
	v_mul_f16_e32 v4, v7, v4
	v_fmac_f16_e32 v4, v27, v2
	v_pack_b32_f16 v2, v3, v5
	s_delay_alu instid0(VALU_DEP_2)
	v_pack_b32_f16 v3, v4, v6
	v_add_nc_u32_e32 v4, 0x2600, v148
	ds_store_2addr_b32 v4, v2, v3 offset0:68 offset1:168
	global_load_b32 v2, v[16:17], off
	global_load_b32 v0, v[0:1], off
	global_load_b32 v5, v[60:61], off offset:3408
	v_lshrrev_b32_e32 v4, 16, v34
	s_load_b128 s[8:11], s[10:11], 0x0
	scratch_store_b32 off, v4, off offset:76 ; 4-byte Folded Spill
	s_waitcnt lgkmcnt(0)
	s_mul_hi_u32 s12, s8, 0x4b0
	s_mul_i32 s13, s8, 0x4b0
	s_waitcnt vmcnt(2)
	v_lshrrev_b32_e32 v1, 16, v2
	v_mul_f16_e32 v3, v4, v2
	s_waitcnt vmcnt(0)
	v_lshrrev_b32_e32 v6, 16, v5
	s_clause 0x1
	scratch_store_b32 off, v5, off
	scratch_store_b32 off, v34, off offset:72
	v_fma_f16 v3, v34, v1, -v3
	v_mul_f16_e32 v1, v4, v1
	v_mul_f16_e32 v4, v6, v0
	scratch_store_b32 off, v6, off offset:4 ; 4-byte Folded Spill
	v_fmac_f16_e32 v1, v34, v2
	v_lshrrev_b32_e32 v2, 16, v0
	s_delay_alu instid0(VALU_DEP_1) | instskip(SKIP_1) | instid1(VALU_DEP_1)
	v_fma_f16 v4, v5, v2, -v4
	v_mul_f16_e32 v2, v6, v2
	v_fmac_f16_e32 v2, v5, v0
	v_pack_b32_f16 v0, v1, v3
	v_lshrrev_b32_e32 v3, 16, v38
	scratch_store_b32 off, v38, off offset:80 ; 4-byte Folded Spill
	v_pack_b32_f16 v1, v2, v4
	v_add_nc_u32_e32 v4, 0x1200, v148
	scratch_store_b32 off, v3, off offset:84 ; 4-byte Folded Spill
	ds_store_2addr_b32 v97, v0, v1 offset0:112 offset1:212
	global_load_b32 v0, v[18:19], off
	v_mov_b32_e32 v49, v4
	s_waitcnt vmcnt(0)
	v_lshrrev_b32_e32 v1, 16, v0
	v_mul_f16_e32 v2, v3, v0
	s_delay_alu instid0(VALU_DEP_1) | instskip(SKIP_1) | instid1(VALU_DEP_1)
	v_fma_f16 v2, v38, v1, -v2
	v_mul_f16_e32 v1, v3, v1
	v_fmac_f16_e32 v1, v38, v0
	s_delay_alu instid0(VALU_DEP_1)
	v_pack_b32_f16 v0, v1, v2
	v_add_nc_u32_e32 v2, 0x800, v148
	ds_store_b32 v148, v0 offset:800
	v_mov_b32_e32 v50, v2
	s_waitcnt lgkmcnt(0)
	s_waitcnt_vscnt null, 0x0
	s_barrier
	buffer_gl0_inv
	ds_load_2addr_b32 v[0:1], v2 offset0:88 offset1:188
	ds_load_2addr_b32 v[2:3], v4 offset0:48 offset1:148
	;; [unrolled: 1-line block ×4, first 2 shown]
	v_dual_mov_b32 v62, v50 :: v_dual_add_nc_u32 v157, 0xc00, v148
	v_add_nc_u32_e32 v119, 0x2800, v148
	ds_load_2addr_b32 v[6:7], v157 offset0:32 offset1:132
	ds_load_2addr_b32 v[12:13], v149 offset0:120 offset1:220
	;; [unrolled: 1-line block ×4, first 2 shown]
	s_waitcnt lgkmcnt(7)
	v_lshrrev_b32_e32 v22, 16, v0
	s_waitcnt lgkmcnt(6)
	v_sub_f16_e32 v4, v0, v2
	s_waitcnt lgkmcnt(4)
	v_sub_f16_e32 v5, v16, v18
	v_lshrrev_b32_e32 v23, 16, v2
	v_lshrrev_b32_e32 v24, 16, v18
	;; [unrolled: 1-line block ×3, first 2 shown]
	v_add_f16_e32 v29, v2, v18
	v_add_f16_e32 v20, v4, v5
	s_waitcnt lgkmcnt(2)
	v_sub_f16_e32 v4, v7, v13
	s_waitcnt lgkmcnt(0)
	v_sub_f16_e32 v5, v9, v11
	v_lshrrev_b32_e32 v27, 16, v7
	v_lshrrev_b32_e32 v32, 16, v13
	v_lshrrev_b32_e32 v33, 16, v11
	v_lshrrev_b32_e32 v34, 16, v9
	v_add_f16_e32 v21, v4, v5
	v_sub_f16_e32 v4, v22, v23
	v_sub_f16_e32 v5, v25, v24
	v_add_f16_e32 v14, v13, v11
	v_sub_f16_e32 v39, v27, v34
	v_sub_f16_e32 v40, v32, v33
	;; [unrolled: 1-line block ×3, first 2 shown]
	v_add_f16_e32 v26, v4, v5
	v_sub_f16_e32 v4, v27, v32
	v_sub_f16_e32 v5, v34, v33
	;; [unrolled: 1-line block ×6, first 2 shown]
	v_add_f16_e32 v36, v4, v5
	ds_load_2addr_b32 v[4:5], v160 offset0:72 offset1:172
	v_sub_f16_e32 v51, v22, v25
	v_add_f16_e32 v47, v23, v24
	s_waitcnt lgkmcnt(0)
	v_fma_f16 v37, -0.5, v14, v5
	v_lshrrev_b32_e32 v35, 16, v5
	v_add_f16_e32 v14, v32, v33
	v_add_f16_e32 v31, v5, v7
	s_delay_alu instid0(VALU_DEP_3) | instskip(NEXT) | instid1(VALU_DEP_3)
	v_add_f16_e32 v48, v35, v27
	v_fma_f16 v38, -0.5, v14, v35
	v_fmamk_f16 v14, v39, 0x3b9c, v37
	s_delay_alu instid0(VALU_DEP_4)
	v_add_f16_e32 v31, v31, v13
	v_sub_f16_e32 v13, v13, v7
	v_fmac_f16_e32 v37, 0xbb9c, v39
	v_fmamk_f16 v15, v41, 0xbb9c, v38
	v_fmac_f16_e32 v14, 0x38b4, v40
	v_add_f16_e32 v31, v31, v11
	v_sub_f16_e32 v11, v11, v9
	v_fmac_f16_e32 v38, 0x3b9c, v41
	v_fmac_f16_e32 v15, 0xb8b4, v42
	;; [unrolled: 1-line block ×3, first 2 shown]
	v_add_f16_e32 v55, v31, v9
	v_add_f16_e32 v11, v13, v11
	;; [unrolled: 1-line block ×3, first 2 shown]
	v_fmac_f16_e32 v15, 0x34f2, v36
	v_mul_f16_e32 v43, 0x3a79, v14
	v_mul_f16_e32 v44, 0xb8b4, v14
	v_fmac_f16_e32 v37, 0xb8b4, v40
	v_fmac_f16_e32 v38, 0x38b4, v42
	v_add_f16_e32 v48, v48, v33
	v_fmac_f16_e32 v43, 0x38b4, v15
	v_fmac_f16_e32 v44, 0x3a79, v15
	ds_load_2addr_b32 v[14:15], v148 offset1:100
	v_fmac_f16_e32 v37, 0x34f2, v21
	v_fmac_f16_e32 v38, 0x34f2, v36
	v_add_f16_e32 v48, v48, v34
	s_waitcnt lgkmcnt(0)
	v_add_f16_e32 v30, v14, v0
	v_lshrrev_b32_e32 v45, 16, v14
	v_fma_f16 v29, -0.5, v29, v14
	s_delay_alu instid0(VALU_DEP_3) | instskip(NEXT) | instid1(VALU_DEP_3)
	v_add_f16_e32 v30, v30, v2
	v_add_f16_e32 v46, v45, v22
	v_sub_f16_e32 v2, v2, v0
	v_add_f16_e32 v0, v0, v16
	v_fma_f16 v47, -0.5, v47, v45
	v_add_f16_e32 v30, v30, v18
	v_add_f16_e32 v46, v46, v23
	v_sub_f16_e32 v18, v18, v16
	v_fma_f16 v0, -0.5, v0, v14
	v_fmamk_f16 v53, v51, 0x3b9c, v29
	v_add_f16_e32 v54, v30, v16
	v_add_f16_e32 v46, v46, v24
	;; [unrolled: 1-line block ×3, first 2 shown]
	v_fmamk_f16 v14, v52, 0xbb9c, v0
	v_fmac_f16_e32 v0, 0x3b9c, v52
	v_sub_f16_e32 v18, v23, v22
	v_add_f16_e32 v46, v46, v25
	v_add_f16_e32 v22, v22, v25
	v_sub_f16_e32 v23, v24, v25
	v_add_f16_e32 v25, v27, v34
	v_fmac_f16_e32 v14, 0x38b4, v51
	v_fmac_f16_e32 v0, 0xb8b4, v51
	v_sub_f16_e32 v24, v32, v27
	v_sub_f16_e32 v27, v33, v34
	v_fmac_f16_e32 v35, -0.5, v25
	v_fmac_f16_e32 v14, 0x34f2, v2
	v_fmac_f16_e32 v0, 0x34f2, v2
	v_add_f16_e32 v2, v7, v9
	v_add_f16_e32 v13, v18, v23
	v_fmamk_f16 v9, v42, 0x3b9c, v35
	v_fmac_f16_e32 v35, 0xbb9c, v42
	v_add_f16_e32 v18, v24, v27
	v_fma_f16 v2, -0.5, v2, v5
	v_fmac_f16_e32 v45, -0.5, v22
	v_fmac_f16_e32 v9, 0xb8b4, v41
	v_fmac_f16_e32 v35, 0x38b4, v41
	v_fmamk_f16 v58, v56, 0xbb9c, v47
	v_fmamk_f16 v5, v40, 0xbb9c, v2
	v_fmac_f16_e32 v2, 0x3b9c, v40
	v_fmamk_f16 v7, v57, 0x3b9c, v45
	v_fmac_f16_e32 v35, 0x34f2, v18
	v_fmac_f16_e32 v45, 0xbb9c, v57
	;; [unrolled: 1-line block ×5, first 2 shown]
	v_mul_f16_e32 v16, 0xb4f2, v35
	v_fmac_f16_e32 v45, 0x38b4, v56
	v_fmac_f16_e32 v5, 0x34f2, v11
	;; [unrolled: 1-line block ×7, first 2 shown]
	v_mul_f16_e32 v11, 0xb4f2, v2
	v_fmac_f16_e32 v16, 0xbb9c, v2
	v_mul_f16_e32 v2, 0xbb9c, v5
	v_fmac_f16_e32 v7, 0x34f2, v13
	v_fmac_f16_e32 v53, 0x34f2, v20
	;; [unrolled: 1-line block ×3, first 2 shown]
	v_add_f16_e32 v13, v45, v16
	v_fmac_f16_e32 v2, 0x34f2, v9
	v_mul_f16_e32 v9, 0x3b9c, v9
	v_fmac_f16_e32 v58, 0x34f2, v26
	v_fmac_f16_e32 v29, 0xbb9c, v51
	;; [unrolled: 1-line block ×3, first 2 shown]
	v_add_f16_e32 v30, v54, v55
	v_fmac_f16_e32 v9, 0x34f2, v5
	v_add_f16_e32 v5, v0, v11
	v_fmac_f16_e32 v29, 0xb8b4, v52
	v_fmac_f16_e32 v47, 0x38b4, v57
	v_sub_f16_e32 v0, v0, v11
	v_add_f16_e32 v31, v46, v48
	v_pack_b32_f16 v33, v5, v13
	v_add_f16_e32 v5, v7, v2
	v_add_f16_e32 v13, v14, v9
	v_sub_f16_e32 v2, v7, v2
	v_sub_f16_e32 v7, v14, v9
	v_mul_f16_e32 v9, 0xba79, v38
	v_fmac_f16_e32 v29, 0x34f2, v20
	v_pack_b32_f16 v32, v13, v5
	v_sub_f16_e32 v5, v53, v43
	v_sub_f16_e32 v13, v58, v44
	v_pack_b32_f16 v35, v7, v2
	v_mul_f16_e32 v7, 0xba79, v37
	v_sub_f16_e32 v2, v54, v55
	v_fmac_f16_e32 v47, 0x34f2, v26
	v_pack_b32_f16 v34, v5, v13
	v_sub_f16_e32 v5, v46, v48
	v_fmac_f16_e32 v7, 0x38b4, v38
	v_fmac_f16_e32 v9, 0xb8b4, v37
	ds_load_2addr_b32 v[13:14], v127 offset0:144 offset1:244
	ds_load_2addr_b32 v[20:21], v186 offset0:104 offset1:204
	;; [unrolled: 1-line block ×5, first 2 shown]
	v_pack_b32_f16 v30, v30, v31
	v_pack_b32_f16 v37, v2, v5
	v_add_f16_e32 v2, v29, v7
	v_add_f16_e32 v5, v47, v9
	;; [unrolled: 1-line block ×4, first 2 shown]
	v_sub_f16_e32 v18, v19, v17
	s_waitcnt lgkmcnt(0)
	v_pack_b32_f16 v36, v2, v5
	v_mul_lo_u16 v2, v28, 10
	v_pack_b32_f16 v31, v31, v59
	v_sub_f16_e32 v5, v47, v9
	v_sub_f16_e32 v9, v3, v1
	s_barrier
	v_and_b32_e32 v2, 0xffff, v2
	buffer_gl0_inv
	v_sub_f16_e32 v11, v3, v19
	v_sub_f16_e32 v51, v26, v24
	v_lshlrev_b32_e32 v162, 2, v2
	v_sub_f16_e32 v2, v29, v7
	v_sub_f16_e32 v7, v45, v16
	ds_store_2addr_b64 v162, v[30:31], v[32:33] offset1:1
	ds_store_2addr_b64 v162, v[36:37], v[34:35] offset0:2 offset1:3
	v_pack_b32_f16 v30, v2, v5
	v_pack_b32_f16 v29, v0, v7
	v_add_f16_e32 v0, v15, v1
	v_lshrrev_b32_e32 v2, 16, v3
	v_add_f16_e32 v5, v3, v19
	v_sub_f16_e32 v7, v1, v3
	v_sub_f16_e32 v16, v17, v19
	v_add_f16_e32 v0, v0, v3
	v_lshrrev_b32_e32 v3, 16, v19
	v_add_f16_e32 v31, v1, v17
	v_sub_f16_e32 v32, v1, v17
	v_lshrrev_b32_e32 v36, 16, v20
	v_add_f16_e32 v0, v0, v19
	v_lshrrev_b32_e32 v19, 16, v1
	v_sub_f16_e32 v1, v26, v20
	v_lshrrev_b32_e32 v37, 16, v22
	v_fma_f16 v5, -0.5, v5, v15
	v_add_f16_e32 v33, v0, v17
	v_add_f16_e32 v0, v9, v18
	v_sub_f16_e32 v9, v24, v22
	v_lshrrev_b32_e32 v18, 16, v24
	v_lshrrev_b32_e32 v34, 16, v15
	v_fmac_f16_e32 v15, -0.5, v31
	v_lshrrev_b32_e32 v31, 16, v13
	v_add_f16_e32 v1, v1, v9
	v_lshrrev_b32_e32 v9, 16, v26
	v_add_f16_e32 v38, v36, v37
	v_sub_f16_e32 v40, v18, v37
	v_add_f16_e32 v39, v31, v36
	v_lshrrev_b32_e32 v17, 16, v17
	v_add_f16_e32 v35, v9, v18
	v_add_f16_e32 v44, v34, v19
	v_sub_f16_e32 v46, v9, v18
	v_sub_f16_e32 v48, v36, v37
	;; [unrolled: 1-line block ×3, first 2 shown]
	v_fma_f16 v35, -0.5, v35, v31
	v_fmac_f16_e32 v31, -0.5, v38
	v_sub_f16_e32 v38, v9, v36
	v_sub_f16_e32 v45, v3, v17
	;; [unrolled: 1-line block ×3, first 2 shown]
	v_add_f16_e32 v7, v7, v16
	v_add_f16_e32 v16, v44, v2
	;; [unrolled: 1-line block ×3, first 2 shown]
	v_sub_f16_e32 v40, v2, v3
	ds_store_b64 v162, v[29:30] offset:32
	v_sub_f16_e32 v29, v23, v25
	v_add_f16_e32 v16, v16, v3
	v_lshrrev_b32_e32 v30, 16, v21
	v_fmamk_f16 v41, v40, 0xbb9c, v15
	v_fmac_f16_e32 v15, 0x3b9c, v40
	s_delay_alu instid0(VALU_DEP_4) | instskip(NEXT) | instid1(VALU_DEP_3)
	v_add_f16_e32 v44, v16, v17
	v_fmac_f16_e32 v41, 0x38b4, v42
	s_delay_alu instid0(VALU_DEP_3) | instskip(NEXT) | instid1(VALU_DEP_2)
	v_fmac_f16_e32 v15, 0xb8b4, v42
	v_fmac_f16_e32 v41, 0x34f2, v0
	s_delay_alu instid0(VALU_DEP_2) | instskip(SKIP_2) | instid1(VALU_DEP_2)
	v_fmac_f16_e32 v15, 0x34f2, v0
	v_add_f16_e32 v0, v2, v3
	v_sub_f16_e32 v3, v17, v3
	v_fma_f16 v43, -0.5, v0, v34
	v_add_f16_e32 v0, v19, v17
	s_delay_alu instid0(VALU_DEP_1) | instskip(SKIP_2) | instid1(VALU_DEP_2)
	v_fmac_f16_e32 v34, -0.5, v0
	v_sub_f16_e32 v0, v2, v19
	v_sub_f16_e32 v2, v19, v2
	v_add_f16_e32 v0, v0, v45
	s_delay_alu instid0(VALU_DEP_4) | instskip(SKIP_1) | instid1(VALU_DEP_4)
	v_fmamk_f16 v45, v11, 0x3b9c, v34
	v_fmac_f16_e32 v34, 0xbb9c, v11
	v_add_f16_e32 v19, v2, v3
	v_sub_f16_e32 v2, v20, v26
	v_sub_f16_e32 v3, v22, v24
	v_fmac_f16_e32 v45, 0xb8b4, v32
	v_fmac_f16_e32 v34, 0x38b4, v32
	s_delay_alu instid0(VALU_DEP_2) | instskip(NEXT) | instid1(VALU_DEP_2)
	v_fmac_f16_e32 v45, 0x34f2, v0
	v_fmac_f16_e32 v34, 0x34f2, v0
	v_add_f16_e32 v0, v20, v22
	s_delay_alu instid0(VALU_DEP_1) | instskip(NEXT) | instid1(VALU_DEP_1)
	v_fma_f16 v0, -0.5, v0, v13
	v_fmamk_f16 v47, v46, 0xbb9c, v0
	v_fmac_f16_e32 v0, 0x3b9c, v46
	s_delay_alu instid0(VALU_DEP_2) | instskip(NEXT) | instid1(VALU_DEP_2)
	v_fmac_f16_e32 v47, 0x38b4, v48
	v_fmac_f16_e32 v0, 0xb8b4, v48
	s_delay_alu instid0(VALU_DEP_2) | instskip(NEXT) | instid1(VALU_DEP_2)
	v_fmac_f16_e32 v47, 0x34f2, v1
	v_fmac_f16_e32 v0, 0x34f2, v1
	v_fmamk_f16 v1, v51, 0x3b9c, v31
	v_fmac_f16_e32 v31, 0xbb9c, v51
	s_delay_alu instid0(VALU_DEP_2) | instskip(NEXT) | instid1(VALU_DEP_2)
	v_fmac_f16_e32 v1, 0xb8b4, v52
	v_fmac_f16_e32 v31, 0x38b4, v52
	s_delay_alu instid0(VALU_DEP_2) | instskip(NEXT) | instid1(VALU_DEP_2)
	v_fmac_f16_e32 v1, 0x34f2, v38
	v_fmac_f16_e32 v31, 0x34f2, v38
	v_mul_f16_e32 v38, 0xb4f2, v0
	s_delay_alu instid0(VALU_DEP_3) | instskip(NEXT) | instid1(VALU_DEP_2)
	v_mul_f16_e32 v53, 0x3b9c, v1
	v_fmac_f16_e32 v38, 0x3b9c, v31
	v_mul_f16_e32 v31, 0xb4f2, v31
	s_delay_alu instid0(VALU_DEP_3) | instskip(SKIP_1) | instid1(VALU_DEP_3)
	v_fmac_f16_e32 v53, 0x34f2, v47
	v_mul_f16_e32 v47, 0xbb9c, v47
	v_fmac_f16_e32 v31, 0xbb9c, v0
	v_add_f16_e32 v0, v15, v38
	s_delay_alu instid0(VALU_DEP_3) | instskip(NEXT) | instid1(VALU_DEP_3)
	v_fmac_f16_e32 v47, 0x34f2, v1
	v_add_f16_e32 v1, v34, v31
	s_delay_alu instid0(VALU_DEP_2) | instskip(NEXT) | instid1(VALU_DEP_2)
	v_add_f16_e32 v54, v45, v47
	v_pack_b32_f16 v1, v0, v1
	v_add_f16_e32 v0, v41, v53
	s_delay_alu instid0(VALU_DEP_1) | instskip(SKIP_4) | instid1(VALU_DEP_3)
	v_pack_b32_f16 v0, v0, v54
	v_add_f16_e32 v54, v2, v3
	v_add_f16_e32 v2, v39, v9
	v_sub_f16_e32 v3, v36, v9
	v_sub_f16_e32 v9, v37, v18
	v_add_f16_e32 v2, v2, v18
	s_delay_alu instid0(VALU_DEP_2) | instskip(SKIP_2) | instid1(VALU_DEP_4)
	v_add_f16_e32 v9, v3, v9
	v_fmamk_f16 v3, v52, 0xbb9c, v35
	v_fmac_f16_e32 v35, 0x3b9c, v52
	v_add_f16_e32 v18, v2, v37
	v_add_f16_e32 v2, v26, v24
	s_delay_alu instid0(VALU_DEP_4) | instskip(NEXT) | instid1(VALU_DEP_4)
	v_fmac_f16_e32 v3, 0xb8b4, v51
	v_fmac_f16_e32 v35, 0x38b4, v51
	s_delay_alu instid0(VALU_DEP_3) | instskip(NEXT) | instid1(VALU_DEP_3)
	v_fma_f16 v36, -0.5, v2, v13
	v_fmac_f16_e32 v3, 0x34f2, v9
	s_delay_alu instid0(VALU_DEP_3) | instskip(NEXT) | instid1(VALU_DEP_3)
	v_fmac_f16_e32 v35, 0x34f2, v9
	v_fmamk_f16 v2, v48, 0x3b9c, v36
	v_fmac_f16_e32 v36, 0xbb9c, v48
	s_delay_alu instid0(VALU_DEP_3) | instskip(NEXT) | instid1(VALU_DEP_3)
	v_mul_f16_e32 v9, 0xba79, v35
	v_fmac_f16_e32 v2, 0x38b4, v46
	s_delay_alu instid0(VALU_DEP_3) | instskip(NEXT) | instid1(VALU_DEP_2)
	v_fmac_f16_e32 v36, 0xb8b4, v46
	v_fmac_f16_e32 v2, 0x34f2, v54
	s_delay_alu instid0(VALU_DEP_2) | instskip(NEXT) | instid1(VALU_DEP_2)
	v_fmac_f16_e32 v36, 0x34f2, v54
	v_mul_f16_e32 v16, 0x3a79, v2
	v_mul_f16_e32 v17, 0xb8b4, v2
	v_add_f16_e32 v2, v13, v20
	v_fmamk_f16 v13, v42, 0x3b9c, v5
	v_fmamk_f16 v20, v32, 0xbb9c, v43
	v_fmac_f16_e32 v5, 0xbb9c, v42
	v_fmac_f16_e32 v43, 0x3b9c, v32
	v_add_f16_e32 v2, v2, v26
	v_fmac_f16_e32 v13, 0x38b4, v40
	v_fmac_f16_e32 v20, 0xb8b4, v11
	v_fmac_f16_e32 v5, 0xb8b4, v40
	v_fmac_f16_e32 v16, 0x38b4, v3
	v_fmac_f16_e32 v17, 0x3a79, v3
	v_add_f16_e32 v2, v2, v24
	v_fmac_f16_e32 v13, 0x34f2, v7
	v_fmac_f16_e32 v20, 0x34f2, v19
	;; [unrolled: 1-line block ×4, first 2 shown]
	v_mul_f16_e32 v7, 0xba79, v36
	v_add_f16_e32 v22, v2, v22
	v_add_f16_e32 v2, v13, v16
	v_sub_f16_e32 v13, v13, v16
	v_sub_f16_e32 v16, v20, v17
	v_fmac_f16_e32 v43, 0x34f2, v19
	v_fmac_f16_e32 v7, 0x38b4, v35
	;; [unrolled: 1-line block ×3, first 2 shown]
	v_add_f16_e32 v3, v20, v17
	v_add_f16_e32 v24, v44, v18
	v_pack_b32_f16 v16, v13, v16
	v_sub_f16_e32 v11, v33, v22
	v_sub_f16_e32 v13, v44, v18
	v_add_f16_e32 v18, v5, v7
	v_add_f16_e32 v19, v43, v9
	v_add_co_u32 v20, null, 0x64, v151
	v_pack_b32_f16 v3, v2, v3
	v_add_f16_e32 v2, v33, v22
	s_delay_alu instid0(VALU_DEP_4)
	v_pack_b32_f16 v18, v18, v19
	v_pack_b32_f16 v19, v11, v13
	v_mul_u32_u24_e32 v11, 10, v20
	v_sub_f16_e32 v17, v45, v47
	v_pack_b32_f16 v2, v2, v24
	v_sub_f16_e32 v24, v41, v53
	v_sub_f16_e32 v13, v8, v10
	v_lshlrev_b32_e32 v165, 2, v11
	v_sub_f16_e32 v11, v12, v10
	v_sub_f16_e32 v22, v21, v27
	v_pack_b32_f16 v17, v24, v17
	ds_store_2addr_b64 v165, v[2:3], v[0:1] offset1:1
	ds_store_2addr_b64 v165, v[18:19], v[16:17] offset0:2 offset1:3
	v_sub_f16_e32 v1, v5, v7
	v_sub_f16_e32 v2, v43, v9
	;; [unrolled: 1-line block ×4, first 2 shown]
	v_lshrrev_b32_e32 v5, 16, v12
	v_sub_f16_e32 v7, v6, v12
	v_pack_b32_f16 v1, v1, v2
	v_add_f16_e32 v2, v4, v6
	v_pack_b32_f16 v0, v0, v3
	v_add_f16_e32 v3, v12, v10
	v_sub_f16_e32 v9, v12, v6
	v_add_f16_e32 v16, v6, v8
	v_add_f16_e32 v2, v2, v12
	v_lshrrev_b32_e32 v12, 16, v10
	v_lshrrev_b32_e32 v15, 16, v6
	v_sub_f16_e32 v17, v6, v8
	v_lshrrev_b32_e32 v6, 16, v8
	v_add_f16_e32 v2, v2, v10
	v_sub_f16_e32 v10, v10, v8
	v_fma_f16 v33, -0.5, v3, v4
	v_lshrrev_b32_e32 v34, 16, v4
	v_fmac_f16_e32 v4, -0.5, v16
	v_add_f16_e32 v18, v2, v8
	v_add_f16_e32 v2, v14, v21
	v_sub_f16_e32 v16, v15, v6
	v_add_f16_e32 v36, v34, v15
	v_sub_f16_e32 v3, v12, v6
	v_lshrrev_b32_e32 v8, 16, v27
	v_add_f16_e32 v2, v2, v27
	v_add_f16_e32 v19, v27, v25
	v_sub_f16_e32 v24, v27, v21
	v_sub_f16_e32 v26, v27, v25
	v_lshrrev_b32_e32 v27, 16, v25
	v_add_f16_e32 v2, v2, v25
	v_sub_f16_e32 v25, v25, v23
	v_add_f16_e32 v31, v21, v23
	v_sub_f16_e32 v21, v21, v23
	v_add_f16_e32 v13, v7, v13
	v_add_f16_e32 v32, v2, v23
	;; [unrolled: 1-line block ×3, first 2 shown]
	v_sub_f16_e32 v9, v5, v12
	v_lshrrev_b32_e32 v23, 16, v23
	v_add_f16_e32 v7, v36, v5
	v_fma_f16 v19, -0.5, v19, v14
	v_sub_f16_e32 v39, v8, v27
	v_fmamk_f16 v10, v9, 0xbb9c, v4
	v_fmac_f16_e32 v4, 0x3b9c, v9
	v_add_f16_e32 v7, v7, v12
	v_sub_f16_e32 v38, v27, v23
	v_sub_f16_e32 v41, v30, v23
	v_fmac_f16_e32 v10, 0x38b4, v16
	v_fmac_f16_e32 v4, 0xb8b4, v16
	v_add_f16_e32 v22, v22, v29
	v_fmamk_f16 v29, v16, 0x3b9c, v33
	ds_store_b64 v165, v[0:1] offset:32
	v_fmac_f16_e32 v10, 0x34f2, v2
	v_fmac_f16_e32 v4, 0x34f2, v2
	v_add_f16_e32 v2, v5, v12
	v_sub_f16_e32 v12, v6, v12
	v_fmac_f16_e32 v29, 0x38b4, v9
	v_fmac_f16_e32 v33, 0xbb9c, v16
	s_delay_alu instid0(VALU_DEP_4) | instskip(SKIP_1) | instid1(VALU_DEP_4)
	v_fma_f16 v35, -0.5, v2, v34
	v_add_f16_e32 v2, v15, v6
	v_fmac_f16_e32 v29, 0x34f2, v13
	s_delay_alu instid0(VALU_DEP_4) | instskip(NEXT) | instid1(VALU_DEP_3)
	v_fmac_f16_e32 v33, 0xb8b4, v9
	v_fmac_f16_e32 v34, -0.5, v2
	v_sub_f16_e32 v2, v5, v15
	v_sub_f16_e32 v5, v15, v5
	v_add_f16_e32 v15, v7, v6
	v_sub_f16_e32 v6, v30, v8
	v_fmamk_f16 v37, v11, 0x3b9c, v34
	v_fmac_f16_e32 v34, 0xbb9c, v11
	v_add_f16_e32 v2, v2, v3
	v_add_f16_e32 v3, v24, v25
	;; [unrolled: 1-line block ×3, first 2 shown]
	v_fmac_f16_e32 v37, 0xb8b4, v17
	v_fmac_f16_e32 v34, 0x38b4, v17
	v_add_f16_e32 v25, v30, v23
	v_add_f16_e32 v12, v5, v12
	v_sub_f16_e32 v7, v23, v27
	v_fmac_f16_e32 v37, 0x34f2, v2
	v_fmac_f16_e32 v34, 0x34f2, v2
	v_lshrrev_b32_e32 v2, 16, v14
	v_fmac_f16_e32 v14, -0.5, v31
	v_fmac_f16_e32 v33, 0x34f2, v13
	s_delay_alu instid0(VALU_DEP_3)
	v_add_f16_e32 v31, v2, v30
	v_fma_f16 v24, -0.5, v24, v2
	v_fmac_f16_e32 v2, -0.5, v25
	v_sub_f16_e32 v25, v8, v30
	v_fmamk_f16 v40, v39, 0xbb9c, v14
	v_add_f16_e32 v5, v31, v8
	v_fmac_f16_e32 v14, 0x3b9c, v39
	v_fmamk_f16 v30, v17, 0xbb9c, v35
	v_add_f16_e32 v25, v25, v38
	v_fmamk_f16 v38, v26, 0x3b9c, v2
	v_add_f16_e32 v5, v5, v27
	v_fmac_f16_e32 v2, 0xbb9c, v26
	v_fmac_f16_e32 v40, 0x38b4, v41
	v_add_f16_e32 v27, v6, v7
	v_fmac_f16_e32 v38, 0xb8b4, v21
	v_add_f16_e32 v23, v5, v23
	v_fmamk_f16 v5, v41, 0x3b9c, v19
	v_fmac_f16_e32 v2, 0x38b4, v21
	v_fmamk_f16 v6, v21, 0xbb9c, v24
	v_fmac_f16_e32 v38, 0x34f2, v25
	v_fmac_f16_e32 v14, 0xb8b4, v41
	;; [unrolled: 1-line block ×5, first 2 shown]
	v_mul_f16_e32 v25, 0x3b9c, v38
	v_fmac_f16_e32 v6, 0xb8b4, v26
	v_fmac_f16_e32 v5, 0x34f2, v22
	;; [unrolled: 1-line block ×3, first 2 shown]
	v_mul_f16_e32 v42, 0xb4f2, v2
	v_fmac_f16_e32 v25, 0x34f2, v40
	v_mul_f16_e32 v40, 0xbb9c, v40
	v_fmac_f16_e32 v6, 0x34f2, v27
	v_mul_f16_e32 v7, 0x3a79, v5
	v_mul_f16_e32 v8, 0xb8b4, v5
	v_fmac_f16_e32 v30, 0xb8b4, v11
	v_fmac_f16_e32 v19, 0xbb9c, v41
	;; [unrolled: 1-line block ×4, first 2 shown]
	v_mul_f16_e32 v14, 0xb4f2, v14
	v_fmac_f16_e32 v40, 0x34f2, v38
	v_fmac_f16_e32 v7, 0x38b4, v6
	;; [unrolled: 1-line block ×7, first 2 shown]
	v_add_f16_e32 v5, v29, v7
	v_add_f16_e32 v6, v30, v8
	v_sub_f16_e32 v0, v29, v7
	v_sub_f16_e32 v1, v10, v25
	;; [unrolled: 1-line block ×4, first 2 shown]
	v_fmac_f16_e32 v35, 0x3b9c, v17
	v_fmac_f16_e32 v19, 0x34f2, v22
	;; [unrolled: 1-line block ×3, first 2 shown]
	v_add_f16_e32 v2, v4, v14
	v_add_f16_e32 v3, v34, v42
	v_pack_b32_f16 v8, v1, v8
	v_fmac_f16_e32 v35, 0x38b4, v11
	v_mul_f16_e32 v1, 0xba79, v19
	v_mul_f16_e32 v11, 0xba79, v24
	v_pack_b32_f16 v3, v2, v3
	v_add_f16_e32 v2, v10, v25
	v_pack_b32_f16 v7, v0, v7
	v_fmac_f16_e32 v35, 0x34f2, v12
	v_fmac_f16_e32 v1, 0x38b4, v24
	;; [unrolled: 1-line block ×3, first 2 shown]
	v_sub_f16_e32 v0, v18, v32
	v_sub_f16_e32 v10, v15, v23
	v_add_f16_e32 v38, v37, v40
	v_add_f16_e32 v9, v33, v1
	v_add_f16_e32 v12, v35, v11
	v_pack_b32_f16 v6, v5, v6
	v_pack_b32_f16 v10, v0, v10
	v_add_co_u32 v0, null, 0xc8, v151
	v_add_f16_e32 v5, v18, v32
	v_add_f16_e32 v31, v15, v23
	v_pack_b32_f16 v9, v9, v12
	s_delay_alu instid0(VALU_DEP_4) | instskip(SKIP_3) | instid1(VALU_DEP_4)
	v_mul_u32_u24_e32 v12, 10, v0
	v_pack_b32_f16 v2, v2, v38
	v_sub_f16_e32 v1, v33, v1
	v_pack_b32_f16 v5, v5, v31
	v_lshlrev_b32_e32 v164, 2, v12
	ds_store_2addr_b64 v164, v[5:6], v[2:3] offset1:1
	ds_store_2addr_b64 v164, v[9:10], v[7:8] offset0:2 offset1:3
	v_sub_f16_e32 v3, v4, v14
	v_sub_f16_e32 v2, v35, v11
	;; [unrolled: 1-line block ×3, first 2 shown]
	s_delay_alu instid0(VALU_DEP_2) | instskip(NEXT) | instid1(VALU_DEP_2)
	v_pack_b32_f16 v2, v1, v2
	v_pack_b32_f16 v1, v3, v4
	ds_store_b64 v164, v[1:2] offset:32
	v_add_co_u32 v1, null, 0x12c, v151
	s_waitcnt lgkmcnt(0)
	s_barrier
	buffer_gl0_inv
	v_and_b32_e32 v2, 0xffff, v1
	s_delay_alu instid0(VALU_DEP_1) | instskip(NEXT) | instid1(VALU_DEP_1)
	v_mul_u32_u24_e32 v2, 0xcccd, v2
	v_lshrrev_b32_e32 v5, 19, v2
	s_delay_alu instid0(VALU_DEP_1) | instskip(NEXT) | instid1(VALU_DEP_1)
	v_mul_lo_u16 v2, v5, 10
	v_sub_nc_u16 v7, v1, v2
	v_add_co_u32 v1, null, 0x190, v151
	s_delay_alu instid0(VALU_DEP_2) | instskip(NEXT) | instid1(VALU_DEP_2)
	v_lshlrev_b16 v21, 1, v7
	v_and_b32_e32 v2, 0xffff, v1
	v_mad_u16 v5, v5, 30, v7
	s_delay_alu instid0(VALU_DEP_3) | instskip(NEXT) | instid1(VALU_DEP_3)
	v_and_b32_e32 v21, 0xffff, v21
	v_mul_u32_u24_e32 v2, 0xcccd, v2
	s_delay_alu instid0(VALU_DEP_3) | instskip(NEXT) | instid1(VALU_DEP_2)
	v_and_b32_e32 v5, 0xffff, v5
	v_lshrrev_b32_e32 v4, 19, v2
	s_delay_alu instid0(VALU_DEP_2) | instskip(NEXT) | instid1(VALU_DEP_2)
	v_lshlrev_b32_e32 v5, 2, v5
	v_mul_lo_u16 v2, v4, 10
	s_delay_alu instid0(VALU_DEP_1) | instskip(SKIP_1) | instid1(VALU_DEP_2)
	v_sub_nc_u16 v8, v1, v2
	v_add_co_u32 v1, null, 0x1f4, v151
	v_mad_u16 v4, v4, 30, v8
	s_delay_alu instid0(VALU_DEP_2) | instskip(NEXT) | instid1(VALU_DEP_2)
	v_and_b32_e32 v2, 0xffff, v1
	v_and_b32_e32 v4, 0xffff, v4
	s_delay_alu instid0(VALU_DEP_2) | instskip(NEXT) | instid1(VALU_DEP_2)
	v_mul_u32_u24_e32 v2, 0xcccd, v2
	v_lshlrev_b32_e32 v4, 2, v4
	s_delay_alu instid0(VALU_DEP_2) | instskip(NEXT) | instid1(VALU_DEP_1)
	v_lshrrev_b32_e32 v13, 19, v2
	v_mul_lo_u16 v2, v13, 10
	s_delay_alu instid0(VALU_DEP_1) | instskip(SKIP_1) | instid1(VALU_DEP_1)
	v_sub_nc_u16 v17, v1, v2
	v_add_co_u32 v1, null, 0x258, v151
	v_and_b32_e32 v2, 0xffff, v1
	s_delay_alu instid0(VALU_DEP_1) | instskip(NEXT) | instid1(VALU_DEP_1)
	v_mul_u32_u24_e32 v2, 0xcccd, v2
	v_lshrrev_b32_e32 v14, 19, v2
	s_delay_alu instid0(VALU_DEP_1) | instskip(NEXT) | instid1(VALU_DEP_1)
	v_mul_lo_u16 v2, v14, 10
	v_sub_nc_u16 v16, v1, v2
	v_add_co_u32 v1, null, 0x2bc, v151
	s_delay_alu instid0(VALU_DEP_1) | instskip(NEXT) | instid1(VALU_DEP_1)
	v_and_b32_e32 v2, 0xffff, v1
	v_mul_u32_u24_e32 v2, 0xcccd, v2
	s_delay_alu instid0(VALU_DEP_1) | instskip(NEXT) | instid1(VALU_DEP_1)
	v_lshrrev_b32_e32 v10, 19, v2
	v_mul_lo_u16 v2, v10, 10
	s_delay_alu instid0(VALU_DEP_1) | instskip(SKIP_1) | instid1(VALU_DEP_2)
	v_sub_nc_u16 v12, v1, v2
	v_add_co_u32 v1, null, 0x320, v151
	v_mad_u16 v10, v10, 30, v12
	s_delay_alu instid0(VALU_DEP_2) | instskip(NEXT) | instid1(VALU_DEP_2)
	v_and_b32_e32 v2, 0xffff, v1
	v_and_b32_e32 v10, 0xffff, v10
	s_delay_alu instid0(VALU_DEP_2) | instskip(NEXT) | instid1(VALU_DEP_2)
	v_mul_u32_u24_e32 v2, 0xcccd, v2
	v_lshlrev_b32_e32 v10, 2, v10
	s_delay_alu instid0(VALU_DEP_2) | instskip(NEXT) | instid1(VALU_DEP_1)
	v_lshrrev_b32_e32 v6, 19, v2
	v_mul_lo_u16 v2, v6, 10
	s_delay_alu instid0(VALU_DEP_1) | instskip(SKIP_1) | instid1(VALU_DEP_1)
	v_sub_nc_u16 v11, v1, v2
	v_add_co_u32 v1, null, 0x384, v151
	v_and_b32_e32 v2, 0xffff, v1
	s_delay_alu instid0(VALU_DEP_1) | instskip(NEXT) | instid1(VALU_DEP_1)
	v_mul_u32_u24_e32 v2, 0xcccd, v2
	v_lshrrev_b32_e32 v2, 19, v2
	s_delay_alu instid0(VALU_DEP_1) | instskip(NEXT) | instid1(VALU_DEP_1)
	v_mul_lo_u16 v3, v2, 10
	v_sub_nc_u16 v3, v1, v3
	v_and_b32_e32 v1, 0xff, v28
	s_delay_alu instid0(VALU_DEP_2) | instskip(NEXT) | instid1(VALU_DEP_2)
	v_mad_u16 v2, v2, 30, v3
	v_mul_lo_u16 v9, 0xcd, v1
	s_delay_alu instid0(VALU_DEP_2) | instskip(NEXT) | instid1(VALU_DEP_2)
	v_and_b32_e32 v2, 0xffff, v2
	v_lshrrev_b16 v25, 11, v9
	s_delay_alu instid0(VALU_DEP_2) | instskip(NEXT) | instid1(VALU_DEP_2)
	v_lshlrev_b32_e32 v2, 2, v2
	v_mul_lo_u16 v9, v25, 10
	v_and_b32_e32 v25, 0xffff, v25
	s_delay_alu instid0(VALU_DEP_2) | instskip(NEXT) | instid1(VALU_DEP_2)
	v_sub_nc_u16 v9, v28, v9
	v_mul_u32_u24_e32 v25, 30, v25
	s_delay_alu instid0(VALU_DEP_2) | instskip(SKIP_1) | instid1(VALU_DEP_2)
	v_and_b32_e32 v26, 0xff, v9
	v_and_b32_e32 v9, 0xffff, v0
	v_add_lshl_u32 v59, v25, v26, 2
	s_delay_alu instid0(VALU_DEP_2) | instskip(NEXT) | instid1(VALU_DEP_1)
	v_mul_u32_u24_e32 v15, 0xcccd, v9
	v_lshrrev_b32_e32 v27, 19, v15
	v_and_b32_e32 v15, 0xff, v20
	s_delay_alu instid0(VALU_DEP_1) | instskip(SKIP_1) | instid1(VALU_DEP_2)
	v_mul_lo_u16 v18, 0xcd, v15
	v_mul_lo_u16 v15, 0x89, v15
	v_lshrrev_b16 v75, 11, v18
	v_mul_lo_u16 v18, v27, 10
	s_delay_alu instid0(VALU_DEP_3) | instskip(NEXT) | instid1(VALU_DEP_2)
	v_lshrrev_b16 v111, 12, v15
	v_sub_nc_u16 v76, v0, v18
	s_delay_alu instid0(VALU_DEP_4) | instskip(SKIP_1) | instid1(VALU_DEP_4)
	v_mul_lo_u16 v18, v75, 10
	v_and_b32_e32 v75, 0xffff, v75
	v_mul_lo_u16 v15, v111, 30
	s_delay_alu instid0(VALU_DEP_4) | instskip(NEXT) | instid1(VALU_DEP_4)
	v_lshlrev_b16 v19, 1, v76
	v_sub_nc_u16 v18, v20, v18
	s_delay_alu instid0(VALU_DEP_4) | instskip(NEXT) | instid1(VALU_DEP_4)
	v_mul_u32_u24_e32 v75, 30, v75
	v_sub_nc_u16 v15, v20, v15
	s_delay_alu instid0(VALU_DEP_4) | instskip(NEXT) | instid1(VALU_DEP_4)
	v_and_b32_e32 v19, 0xffff, v19
	v_and_b32_e32 v77, 0xff, v18
	s_delay_alu instid0(VALU_DEP_3) | instskip(NEXT) | instid1(VALU_DEP_3)
	v_and_b32_e32 v113, 0xff, v15
	v_lshlrev_b32_e32 v18, 2, v19
	v_lshlrev_b32_e32 v19, 2, v21
	;; [unrolled: 1-line block ×3, first 2 shown]
	global_load_b64 v[65:66], v21, s[6:7]
	v_lshlrev_b32_e32 v21, 3, v77
	s_clause 0x2
	global_load_b64 v[67:68], v21, s[6:7]
	global_load_b64 v[224:225], v18, s[6:7]
	;; [unrolled: 1-line block ×3, first 2 shown]
	ds_load_2addr_b32 v[18:19], v186 offset0:104 offset1:204
	ds_load_2addr_b32 v[23:24], v148 offset1:100
	v_add_lshl_u32 v77, v75, v77, 2
	s_waitcnt lgkmcnt(1)
	v_lshrrev_b32_e32 v29, 16, v18
	s_waitcnt lgkmcnt(0)
	v_lshrrev_b32_e32 v78, 16, v23
	s_waitcnt vmcnt(3)
	v_lshrrev_b32_e32 v21, 16, v65
	v_lshrrev_b32_e32 v35, 16, v66
	s_waitcnt vmcnt(2)
	v_lshrrev_b32_e32 v81, 16, v67
	s_delay_alu instid0(VALU_DEP_3)
	v_mul_f16_e32 v30, v18, v21
	v_mov_b32_e32 v36, v21
	ds_load_2addr_b32 v[21:22], v110 offset0:80 offset1:180
	v_lshrrev_b32_e32 v85, 16, v68
	v_fmac_f16_e32 v30, v29, v65
	v_mul_f16_e32 v29, v29, v36
	s_delay_alu instid0(VALU_DEP_2) | instskip(NEXT) | instid1(VALU_DEP_2)
	v_add_f16_e32 v34, v78, v30
	v_fma_f16 v18, v18, v65, -v29
	s_delay_alu instid0(VALU_DEP_1) | instskip(SKIP_3) | instid1(VALU_DEP_1)
	v_add_f16_e32 v29, v23, v18
	s_waitcnt lgkmcnt(0)
	v_lshrrev_b32_e32 v31, 16, v21
	v_mul_f16_e32 v32, v21, v35
	v_fmac_f16_e32 v32, v31, v66
	v_mul_f16_e32 v31, v31, v35
	s_delay_alu instid0(VALU_DEP_2) | instskip(NEXT) | instid1(VALU_DEP_2)
	v_add_f16_e32 v33, v30, v32
	v_fma_f16 v21, v21, v66, -v31
	v_sub_f16_e32 v79, v30, v32
	v_lshlrev_b16 v30, 1, v12
	s_delay_alu instid0(VALU_DEP_4) | instskip(NEXT) | instid1(VALU_DEP_4)
	v_fmac_f16_e32 v78, -0.5, v33
	v_add_f16_e32 v31, v18, v21
	v_sub_f16_e32 v18, v18, v21
	v_add_f16_e32 v21, v29, v21
	v_add_f16_e32 v29, v34, v32
	v_lshlrev_b16 v32, 1, v3
	v_fma_f16 v23, -0.5, v31, v23
	v_fmamk_f16 v26, v18, 0xbaee, v78
	v_lshlrev_b16 v31, 1, v11
	v_pack_b32_f16 v21, v21, v29
	v_lshlrev_b16 v29, 1, v16
	v_fmamk_f16 v25, v79, 0x3aee, v23
	v_and_b32_e32 v30, 0xffff, v30
	v_and_b32_e32 v31, 0xffff, v31
	;; [unrolled: 1-line block ×4, first 2 shown]
	v_pack_b32_f16 v80, v25, v26
	v_lshlrev_b16 v25, 1, v8
	v_lshlrev_b16 v26, 1, v17
	v_lshlrev_b32_e32 v30, 2, v30
	v_lshlrev_b32_e32 v29, 2, v29
	;; [unrolled: 1-line block ×3, first 2 shown]
	v_and_b32_e32 v25, 0xffff, v25
	v_and_b32_e32 v26, 0xffff, v26
	v_lshlrev_b32_e32 v32, 2, v32
	v_fmac_f16_e32 v78, 0x3aee, v18
	v_fmac_f16_e32 v23, 0xbaee, v79
	v_lshlrev_b32_e32 v25, 2, v25
	v_lshlrev_b32_e32 v26, 2, v26
	s_clause 0x5
	global_load_b64 v[69:70], v25, s[6:7]
	global_load_b64 v[63:64], v26, s[6:7]
	;; [unrolled: 1-line block ×6, first 2 shown]
	ds_load_2addr_b32 v[25:26], v160 offset0:72 offset1:172
	ds_load_2addr_b32 v[29:30], v49 offset0:48 offset1:148
	;; [unrolled: 1-line block ×12, first 2 shown]
	s_waitcnt vmcnt(0) lgkmcnt(0)
	s_barrier
	buffer_gl0_inv
	ds_store_2addr_b32 v59, v21, v80 offset1:10
	v_lshrrev_b32_e32 v21, 16, v19
	v_pack_b32_f16 v23, v23, v78
	scratch_store_b32 off, v59, off offset:248 ; 4-byte Folded Spill
	v_lshrrev_b32_e32 v78, 16, v225
	v_mul_f16_e32 v80, v21, v81
	s_delay_alu instid0(VALU_DEP_1) | instskip(SKIP_2) | instid1(VALU_DEP_3)
	v_fma_f16 v80, v19, v67, -v80
	v_mul_f16_e32 v19, v19, v81
	v_lshrrev_b32_e32 v81, 16, v22
	v_add_f16_e32 v79, v24, v80
	s_delay_alu instid0(VALU_DEP_3) | instskip(NEXT) | instid1(VALU_DEP_3)
	v_fmac_f16_e32 v19, v21, v67
	v_mul_f16_e32 v82, v81, v85
	v_lshrrev_b32_e32 v21, 16, v24
	s_delay_alu instid0(VALU_DEP_2) | instskip(SKIP_1) | instid1(VALU_DEP_2)
	v_fma_f16 v82, v22, v68, -v82
	v_mul_f16_e32 v22, v22, v85
	v_add_f16_e32 v18, v80, v82
	s_delay_alu instid0(VALU_DEP_2) | instskip(NEXT) | instid1(VALU_DEP_2)
	v_fmac_f16_e32 v22, v81, v68
	v_fmac_f16_e32 v24, -0.5, v18
	v_add_f16_e32 v18, v21, v19
	s_delay_alu instid0(VALU_DEP_3) | instskip(SKIP_1) | instid1(VALU_DEP_3)
	v_add_f16_e32 v81, v19, v22
	v_sub_f16_e32 v19, v19, v22
	v_add_f16_e32 v18, v18, v22
	s_delay_alu instid0(VALU_DEP_3) | instskip(SKIP_2) | instid1(VALU_DEP_2)
	v_fmac_f16_e32 v21, -0.5, v81
	v_add_f16_e32 v22, v79, v82
	v_sub_f16_e32 v79, v80, v82
	v_pack_b32_f16 v18, v22, v18
	v_fmamk_f16 v22, v19, 0x3aee, v24
	s_delay_alu instid0(VALU_DEP_3) | instskip(SKIP_3) | instid1(VALU_DEP_4)
	v_fmamk_f16 v75, v79, 0xbaee, v21
	v_fmac_f16_e32 v24, 0xbaee, v19
	v_fmac_f16_e32 v21, 0x3aee, v79
	v_lshrrev_b32_e32 v19, 16, v29
	v_pack_b32_f16 v22, v22, v75
	ds_store_b32 v59, v23 offset:80
	ds_store_2addr_b32 v77, v18, v22 offset1:10
	v_lshrrev_b32_e32 v22, 16, v224
	v_pack_b32_f16 v18, v24, v21
	v_mul_f16_e32 v23, v31, v78
	v_lshrrev_b32_e32 v24, 16, v25
	v_mov_b32_e32 v59, v77
	v_mul_f16_e32 v21, v29, v22
	v_mov_b32_e32 v79, v22
	v_lshrrev_b32_e32 v22, 16, v31
	scratch_store_b32 off, v2, off offset:280 ; 4-byte Folded Spill
	ds_store_b32 v59, v18 offset:80
	v_fmac_f16_e64 v21, v19, v224
	v_mul_f16_e32 v19, v19, v79
	v_fmac_f16_e64 v23, v22, v225
	v_mul_f16_e32 v22, v22, v78
	v_mad_u16 v18, v27, 30, v76
	v_add_f16_e32 v75, v24, v21
	v_fma_f16 v19, v29, v224, -v19
	v_add_f16_e32 v77, v21, v23
	v_fma_f16 v22, v31, v225, -v22
	v_sub_f16_e32 v21, v21, v23
	v_add_f16_e32 v23, v75, v23
	v_add_f16_e32 v29, v25, v19
	v_fmac_f16_e32 v24, -0.5, v77
	v_add_f16_e32 v31, v19, v22
	v_sub_f16_e32 v19, v19, v22
	v_and_b32_e32 v18, 0xffff, v18
	v_add_f16_e32 v29, v29, v22
	s_delay_alu instid0(VALU_DEP_3) | instskip(NEXT) | instid1(VALU_DEP_3)
	v_fmamk_f16 v27, v19, 0xbaee, v24
	v_lshlrev_b32_e32 v18, 2, v18
	s_delay_alu instid0(VALU_DEP_3)
	v_pack_b32_f16 v22, v29, v23
	v_fma_f16 v23, -0.5, v31, v25
	v_fmac_f16_e32 v24, 0x3aee, v19
	v_lshrrev_b32_e32 v19, 16, v26
	v_mov_b32_e32 v31, v18
	scratch_store_b32 off, v59, off offset:252 ; 4-byte Folded Spill
	v_fmamk_f16 v25, v21, 0x3aee, v23
	v_fmac_f16_e32 v23, 0xbaee, v21
	v_mov_b32_e32 v59, v49
	s_delay_alu instid0(VALU_DEP_3) | instskip(SKIP_1) | instid1(VALU_DEP_4)
	v_pack_b32_f16 v25, v25, v27
	v_lshrrev_b32_e32 v27, 16, v32
	v_pack_b32_f16 v23, v23, v24
	ds_store_2addr_b32 v18, v22, v25 offset1:10
	v_lshrrev_b32_e32 v18, 16, v30
	v_lshrrev_b32_e32 v25, 16, v57
	ds_store_b32 v31, v23 offset:80
	v_mul_f16_e32 v22, v18, v25
	v_mul_f16_e32 v25, v30, v25
	s_delay_alu instid0(VALU_DEP_2) | instskip(SKIP_1) | instid1(VALU_DEP_3)
	v_fma_f16 v22, v30, v57, -v22
	v_lshrrev_b32_e32 v30, 16, v58
	v_fmac_f16_e32 v25, v18, v57
	s_delay_alu instid0(VALU_DEP_3) | instskip(NEXT) | instid1(VALU_DEP_3)
	v_add_f16_e32 v21, v26, v22
	v_mul_f16_e32 v29, v27, v30
	v_mul_f16_e32 v30, v32, v30
	s_delay_alu instid0(VALU_DEP_2) | instskip(NEXT) | instid1(VALU_DEP_2)
	v_fma_f16 v29, v32, v58, -v29
	v_fmac_f16_e32 v30, v27, v58
	s_delay_alu instid0(VALU_DEP_2) | instskip(NEXT) | instid1(VALU_DEP_2)
	v_add_f16_e32 v18, v22, v29
	v_add_f16_e32 v27, v25, v30
	;; [unrolled: 1-line block ×3, first 2 shown]
	v_sub_f16_e32 v22, v22, v29
	s_delay_alu instid0(VALU_DEP_4)
	v_fmac_f16_e32 v26, -0.5, v18
	v_add_f16_e32 v18, v19, v25
	v_sub_f16_e32 v25, v25, v30
	v_fmac_f16_e32 v19, -0.5, v27
	v_mov_b32_e32 v27, v5
	scratch_store_b32 off, v31, off offset:256 ; 4-byte Folded Spill
	v_add_f16_e32 v18, v18, v30
	s_delay_alu instid0(VALU_DEP_1)
	v_pack_b32_f16 v7, v21, v18
	v_fmamk_f16 v18, v25, 0x3aee, v26
	v_fmamk_f16 v21, v22, 0xbaee, v19
	v_fmac_f16_e32 v26, 0xbaee, v25
	v_fmac_f16_e32 v19, 0x3aee, v22
	v_lshrrev_b32_e32 v22, 16, v33
	s_delay_alu instid0(VALU_DEP_4)
	v_pack_b32_f16 v18, v18, v21
	ds_store_2addr_b32 v5, v7, v18 offset1:10
	v_pack_b32_f16 v5, v26, v19
	v_lshrrev_b32_e32 v7, 16, v35
	ds_store_b32 v27, v5 offset:80
	v_lshrrev_b32_e32 v19, 16, v69
	v_lshrrev_b32_e32 v25, 16, v70
	v_lshrrev_b32_e32 v204, 16, v55
	v_lshrrev_b32_e32 v198, 16, v53
	s_delay_alu instid0(VALU_DEP_4)
	v_mul_f16_e32 v18, v35, v19
	v_mov_b32_e32 v26, v19
	v_lshrrev_b32_e32 v19, 16, v37
	v_mul_f16_e32 v21, v37, v25
	v_lshrrev_b32_e32 v212, 16, v51
	v_fmac_f16_e32 v18, v7, v69
	v_mul_f16_e32 v7, v7, v26
	v_lshrrev_b32_e32 v194, 16, v52
	v_fmac_f16_e32 v21, v19, v70
	v_mul_f16_e32 v19, v19, v25
	v_add_f16_e32 v23, v22, v18
	v_fma_f16 v7, v35, v69, -v7
	v_mov_b32_e32 v25, v4
	scratch_store_b32 off, v27, off offset:260 ; 4-byte Folded Spill
	v_add_f16_e32 v24, v18, v21
	v_fma_f16 v19, v37, v70, -v19
	v_sub_f16_e32 v18, v18, v21
	v_add_f16_e32 v21, v23, v21
	v_add_f16_e32 v23, v33, v7
	v_fmac_f16_e32 v22, -0.5, v24
	v_add_f16_e32 v24, v7, v19
	v_sub_f16_e32 v7, v7, v19
	s_delay_alu instid0(VALU_DEP_4) | instskip(NEXT) | instid1(VALU_DEP_3)
	v_add_f16_e32 v23, v23, v19
	v_fma_f16 v8, -0.5, v24, v33
	v_lshrrev_b32_e32 v24, 16, v64
	s_delay_alu instid0(VALU_DEP_3) | instskip(SKIP_1) | instid1(VALU_DEP_4)
	v_pack_b32_f16 v5, v23, v21
	v_fmamk_f16 v21, v7, 0xbaee, v22
	v_fmamk_f16 v19, v18, 0x3aee, v8
	v_fmac_f16_e32 v8, 0xbaee, v18
	v_fmac_f16_e32 v22, 0x3aee, v7
	v_lshrrev_b32_e32 v7, 16, v34
	s_delay_alu instid0(VALU_DEP_4) | instskip(SKIP_1) | instid1(VALU_DEP_4)
	v_pack_b32_f16 v19, v19, v21
	v_lshrrev_b32_e32 v21, 16, v38
	v_pack_b32_f16 v8, v8, v22
	v_lshrrev_b32_e32 v22, 16, v211
	ds_store_2addr_b32 v4, v5, v19 offset1:10
	v_lshrrev_b32_e32 v4, 16, v36
	v_lshrrev_b32_e32 v19, 16, v63
	v_mul_f16_e32 v23, v21, v24
	v_mul_f16_e32 v24, v38, v24
	ds_store_b32 v25, v8 offset:80
	v_mad_u16 v8, v13, 30, v17
	v_mul_f16_e32 v5, v4, v19
	v_mul_f16_e32 v19, v36, v19
	v_fma_f16 v23, v38, v64, -v23
	v_fmac_f16_e32 v24, v21, v64
	v_and_b32_e32 v8, 0xffff, v8
	v_fma_f16 v5, v36, v63, -v5
	v_fmac_f16_e32 v19, v4, v63
	s_delay_alu instid0(VALU_DEP_3) | instskip(NEXT) | instid1(VALU_DEP_3)
	v_lshlrev_b32_e32 v8, 2, v8
	v_add_f16_e32 v4, v5, v23
	s_delay_alu instid0(VALU_DEP_3) | instskip(SKIP_2) | instid1(VALU_DEP_4)
	v_add_f16_e32 v21, v19, v24
	v_add_f16_e32 v18, v34, v5
	v_sub_f16_e32 v5, v5, v23
	v_fmac_f16_e32 v34, -0.5, v4
	v_add_f16_e32 v4, v7, v19
	v_sub_f16_e32 v19, v19, v24
	v_fmac_f16_e32 v7, -0.5, v21
	v_add_f16_e32 v18, v18, v23
	v_mov_b32_e32 v21, v8
	v_add_f16_e32 v4, v4, v24
	v_fmamk_f16 v13, v19, 0x3aee, v34
	v_fmamk_f16 v17, v5, 0xbaee, v7
	v_fmac_f16_e32 v34, 0xbaee, v19
	v_fmac_f16_e32 v7, 0x3aee, v5
	v_pack_b32_f16 v4, v18, v4
	v_lshrrev_b32_e32 v5, 16, v41
	v_pack_b32_f16 v13, v13, v17
	v_lshrrev_b32_e32 v17, 16, v39
	s_clause 0x1
	scratch_store_b32 off, v25, off offset:264
	scratch_store_b32 off, v21, off offset:268
	ds_store_2addr_b32 v8, v4, v13 offset1:10
	v_lshrrev_b32_e32 v8, 16, v210
	v_pack_b32_f16 v4, v34, v7
	v_mul_f16_e32 v13, v43, v22
	s_delay_alu instid0(VALU_DEP_3)
	v_mul_f16_e32 v7, v41, v8
	v_mov_b32_e32 v23, v8
	v_lshrrev_b32_e32 v8, 16, v43
	ds_store_b32 v21, v4 offset:80
	v_mad_u16 v4, v14, 30, v16
	v_fmac_f16_e64 v7, v5, v210
	v_mul_f16_e32 v5, v5, v23
	v_fmac_f16_e64 v13, v8, v211
	v_mul_f16_e32 v8, v8, v22
	v_and_b32_e32 v4, 0xffff, v4
	v_add_f16_e32 v18, v17, v7
	v_fma_f16 v5, v41, v210, -v5
	v_add_f16_e32 v19, v7, v13
	v_sub_f16_e32 v7, v7, v13
	v_fma_f16 v8, v43, v211, -v8
	v_add_f16_e32 v13, v18, v13
	v_add_f16_e32 v18, v39, v5
	v_fmac_f16_e32 v17, -0.5, v19
	v_lshlrev_b32_e32 v4, 2, v4
	v_add_f16_e32 v19, v5, v8
	v_sub_f16_e32 v5, v5, v8
	v_add_f16_e32 v18, v18, v8
	s_delay_alu instid0(VALU_DEP_4) | instskip(NEXT) | instid1(VALU_DEP_3)
	v_mov_b32_e32 v21, v4
	v_fmamk_f16 v16, v5, 0xbaee, v17
	s_delay_alu instid0(VALU_DEP_3) | instskip(SKIP_4) | instid1(VALU_DEP_4)
	v_pack_b32_f16 v8, v18, v13
	v_fma_f16 v13, -0.5, v19, v39
	v_lshrrev_b32_e32 v19, 16, v56
	v_fmac_f16_e32 v17, 0x3aee, v5
	v_lshrrev_b32_e32 v5, 16, v40
	v_fmamk_f16 v14, v7, 0x3aee, v13
	v_fmac_f16_e32 v13, 0xbaee, v7
	s_delay_alu instid0(VALU_DEP_2) | instskip(SKIP_1) | instid1(VALU_DEP_3)
	v_pack_b32_f16 v14, v14, v16
	v_lshrrev_b32_e32 v16, 16, v44
	v_pack_b32_f16 v13, v13, v17
	v_lshrrev_b32_e32 v17, 16, v54
	ds_store_2addr_b32 v4, v8, v14 offset1:10
	v_lshrrev_b32_e32 v4, 16, v42
	v_mul_f16_e32 v18, v16, v19
	v_mul_f16_e64 v14, v42, v204
	v_mul_f16_e32 v19, v44, v19
	ds_store_b32 v21, v13 offset:80
	v_mul_f16_e64 v8, v4, v204
	v_fma_f16 v18, v44, v56, -v18
	v_fmac_f16_e32 v14, v4, v55
	v_fmac_f16_e32 v19, v16, v56
	s_delay_alu instid0(VALU_DEP_4) | instskip(NEXT) | instid1(VALU_DEP_2)
	v_fma_f16 v8, v42, v55, -v8
	v_add_f16_e32 v16, v14, v19
	s_delay_alu instid0(VALU_DEP_2) | instskip(SKIP_2) | instid1(VALU_DEP_3)
	v_add_f16_e32 v4, v8, v18
	v_add_f16_e32 v7, v40, v8
	v_sub_f16_e32 v8, v8, v18
	v_fmac_f16_e32 v40, -0.5, v4
	v_add_f16_e32 v4, v5, v14
	v_sub_f16_e32 v14, v14, v19
	v_fmac_f16_e32 v5, -0.5, v16
	v_add_f16_e32 v7, v7, v18
	v_mov_b32_e32 v16, v10
	v_add_f16_e32 v4, v4, v19
	scratch_store_b32 off, v21, off offset:272 ; 4-byte Folded Spill
	v_fmamk_f16 v12, v8, 0xbaee, v5
	v_fmac_f16_e32 v5, 0x3aee, v8
	v_lshrrev_b32_e32 v8, 16, v71
	v_pack_b32_f16 v4, v7, v4
	v_fmamk_f16 v7, v14, 0x3aee, v40
	v_fmac_f16_e32 v40, 0xbaee, v14
	s_delay_alu instid0(VALU_DEP_2)
	v_pack_b32_f16 v7, v7, v12
	v_lshrrev_b32_e32 v12, 16, v45
	ds_store_2addr_b32 v10, v4, v7 offset1:10
	v_pack_b32_f16 v4, v40, v5
	v_lshrrev_b32_e32 v5, 16, v47
	v_mul_f16_e64 v7, v47, v198
	v_mul_f16_e32 v10, v71, v17
	ds_store_b32 v16, v4 offset:80
	v_mad_u16 v4, v6, 30, v11
	v_fmac_f16_e32 v7, v5, v53
	v_fmac_f16_e32 v10, v8, v54
	v_mul_f16_e64 v5, v5, v198
	v_mul_f16_e32 v8, v8, v17
	v_and_b32_e32 v4, 0xffff, v4
	v_add_f16_e32 v13, v12, v7
	v_add_f16_e32 v14, v7, v10
	v_fma_f16 v5, v47, v53, -v5
	v_fma_f16 v8, v71, v54, -v8
	v_sub_f16_e32 v7, v7, v10
	v_add_f16_e32 v10, v13, v10
	v_fmac_f16_e32 v12, -0.5, v14
	v_add_f16_e32 v13, v45, v5
	v_add_f16_e32 v14, v5, v8
	v_sub_f16_e32 v5, v5, v8
	v_lshlrev_b32_e32 v4, 2, v4
	s_delay_alu instid0(VALU_DEP_4) | instskip(NEXT) | instid1(VALU_DEP_4)
	v_add_f16_e32 v13, v13, v8
	v_fma_f16 v8, -0.5, v14, v45
	s_delay_alu instid0(VALU_DEP_4) | instskip(NEXT) | instid1(VALU_DEP_4)
	v_fmamk_f16 v11, v5, 0xbaee, v12
	v_mov_b32_e32 v18, v4
	v_mul_f16_e64 v14, v72, v194
	v_pack_b32_f16 v6, v13, v10
	v_fmamk_f16 v10, v7, 0x3aee, v8
	s_clause 0x1
	scratch_store_b32 off, v16, off offset:276
	scratch_store_b32 off, v18, off offset:284
	v_fmac_f16_e32 v8, 0xbaee, v7
	v_fmac_f16_e32 v12, 0x3aee, v5
	v_pack_b32_f16 v10, v10, v11
	v_lshrrev_b32_e32 v11, 16, v72
	s_delay_alu instid0(VALU_DEP_3)
	v_pack_b32_f16 v7, v8, v12
	ds_store_2addr_b32 v4, v6, v10 offset1:10
	v_lshrrev_b32_e32 v4, 16, v48
	v_mul_f16_e64 v13, v11, v194
	v_mul_f16_e64 v10, v48, v212
	v_fmac_f16_e32 v14, v11, v52
	v_lshrrev_b32_e32 v11, 16, v46
	v_mul_f16_e64 v6, v4, v212
	v_fma_f16 v13, v72, v52, -v13
	v_fmac_f16_e32 v10, v4, v51
	ds_store_b32 v18, v7 offset:80
	v_fma_f16 v6, v48, v51, -v6
	s_delay_alu instid0(VALU_DEP_1) | instskip(SKIP_1) | instid1(VALU_DEP_2)
	v_add_f16_e32 v4, v6, v13
	v_add_f16_e32 v16, v46, v6
	v_fmac_f16_e32 v46, -0.5, v4
	v_sub_f16_e32 v4, v10, v14
	s_delay_alu instid0(VALU_DEP_3) | instskip(NEXT) | instid1(VALU_DEP_2)
	v_add_f16_e32 v5, v16, v13
	v_fmamk_f16 v17, v4, 0x3aee, v46
	v_fmac_f16_e32 v46, 0xbaee, v4
	v_add_f16_e32 v4, v10, v14
	v_add_f16_e32 v10, v11, v10
	s_delay_alu instid0(VALU_DEP_2) | instskip(SKIP_1) | instid1(VALU_DEP_3)
	v_fmac_f16_e32 v11, -0.5, v4
	v_sub_f16_e32 v4, v6, v13
	v_add_f16_e32 v8, v10, v14
	s_delay_alu instid0(VALU_DEP_2) | instskip(SKIP_1) | instid1(VALU_DEP_3)
	v_fmamk_f16 v6, v4, 0xbaee, v11
	v_fmac_f16_e32 v11, 0x3aee, v4
	v_pack_b32_f16 v3, v5, v8
	s_delay_alu instid0(VALU_DEP_3) | instskip(NEXT) | instid1(VALU_DEP_3)
	v_pack_b32_f16 v5, v17, v6
	v_pack_b32_f16 v4, v46, v11
	ds_store_2addr_b32 v2, v3, v5 offset1:10
	ds_store_b32 v2, v4 offset:80
	v_mul_u32_u24_e32 v2, 0x8889, v9
	s_waitcnt lgkmcnt(0)
	s_waitcnt_vscnt null, 0x0
	s_barrier
	buffer_gl0_inv
	v_lshrrev_b32_e32 v29, 20, v2
	s_delay_alu instid0(VALU_DEP_1) | instskip(NEXT) | instid1(VALU_DEP_1)
	v_mul_lo_u16 v2, v29, 30
	v_sub_nc_u16 v30, v0, v2
	v_mul_lo_u16 v0, 0x89, v1
	s_delay_alu instid0(VALU_DEP_1) | instskip(NEXT) | instid1(VALU_DEP_1)
	v_lshrrev_b16 v39, 12, v0
	v_mul_lo_u16 v0, v39, 30
	v_and_b32_e32 v39, 0xffff, v39
	s_delay_alu instid0(VALU_DEP_2) | instskip(SKIP_1) | instid1(VALU_DEP_3)
	v_sub_nc_u16 v16, v28, v0
	v_mul_lo_u16 v0, v30, 36
	v_mul_u32_u24_e32 v39, 0x12c, v39
	s_delay_alu instid0(VALU_DEP_2) | instskip(NEXT) | instid1(VALU_DEP_1)
	v_and_b32_e32 v0, 0xffff, v0
	v_add_co_u32 v0, s2, s6, v0
	s_delay_alu instid0(VALU_DEP_1)
	v_add_co_ci_u32_e64 v1, null, s7, 0, s2
	s_clause 0x2
	global_load_b32 v161, v[0:1], off offset:112
	global_load_b128 v[206:209], v[0:1], off offset:80
	global_load_b128 v[213:216], v[0:1], off offset:96
	ds_load_2addr_b32 v[9:10], v149 offset0:120 offset1:220
	ds_load_2addr_b32 v[13:14], v157 offset0:32 offset1:132
	;; [unrolled: 1-line block ×9, first 2 shown]
	s_waitcnt lgkmcnt(8)
	v_lshrrev_b32_e32 v0, 16, v9
	s_waitcnt lgkmcnt(5)
	v_lshrrev_b32_e32 v41, 16, v21
	v_lshrrev_b32_e32 v34, 16, v22
	s_waitcnt lgkmcnt(4)
	v_lshrrev_b32_e32 v189, 16, v98
	s_waitcnt lgkmcnt(3)
	v_lshrrev_b32_e32 v218, 16, v102
	s_waitcnt lgkmcnt(0)
	v_lshrrev_b32_e32 v18, 16, v108
	s_waitcnt vmcnt(1)
	v_lshrrev_b32_e32 v1, 16, v209
	v_lshrrev_b32_e32 v2, 16, v207
	s_waitcnt vmcnt(0)
	v_lshrrev_b32_e32 v3, 16, v216
	v_lshrrev_b32_e32 v156, 16, v213
	;; [unrolled: 1-line block ×3, first 2 shown]
	v_mul_f16_e32 v28, v9, v1
	v_mul_f16_e32 v31, v13, v2
	v_lshrrev_b32_e32 v147, 16, v206
	v_mul_f16_e64 v47, v99, v156
	v_mul_f16_e64 v71, v103, v154
	v_fmac_f16_e64 v28, v0, v209
	v_mul_f16_e32 v0, v0, v1
	v_lshrrev_b32_e32 v1, 16, v13
	v_mul_f16_e64 v42, v24, v147
	v_lshrrev_b32_e32 v143, 16, v208
	s_delay_alu instid0(VALU_DEP_4)
	v_fma_f16 v38, v9, v209, -v0
	ds_load_2addr_b32 v[8:9], v119 offset0:40 offset1:140
	v_fmac_f16_e64 v31, v1, v207
	v_mul_f16_e32 v1, v1, v2
	v_lshrrev_b32_e32 v2, 16, v214
	v_lshrrev_b32_e32 v0, 16, v11
	v_mul_f16_e64 v48, v101, v143
	s_delay_alu instid0(VALU_DEP_4) | instskip(NEXT) | instid1(VALU_DEP_4)
	v_fma_f16 v13, v13, v207, -v1
	v_mul_f16_e32 v36, v11, v2
	s_delay_alu instid0(VALU_DEP_2) | instskip(NEXT) | instid1(VALU_DEP_2)
	v_add_f16_e32 v46, v21, v13
	v_fmac_f16_e64 v36, v0, v214
	v_mul_f16_e32 v0, v0, v2
	s_delay_alu instid0(VALU_DEP_2) | instskip(NEXT) | instid1(VALU_DEP_2)
	v_sub_f16_e32 v82, v28, v36
	v_fma_f16 v11, v11, v214, -v0
	s_waitcnt lgkmcnt(0)
	v_lshrrev_b32_e32 v2, 16, v8
	v_mul_f16_e32 v37, v8, v3
	v_lshrrev_b32_e32 v20, 16, v9
	v_add_f16_e32 v0, v38, v11
	s_delay_alu instid0(VALU_DEP_3) | instskip(SKIP_2) | instid1(VALU_DEP_4)
	v_fmac_f16_e64 v37, v2, v216
	v_mul_f16_e32 v2, v2, v3
	v_lshrrev_b32_e32 v3, 16, v101
	v_fma_f16 v40, -0.5, v0, v21
	s_delay_alu instid0(VALU_DEP_4) | instskip(NEXT) | instid1(VALU_DEP_4)
	v_sub_f16_e32 v85, v31, v37
	v_fma_f16 v8, v8, v216, -v2
	v_lshrrev_b32_e32 v2, 16, v161
	v_mul_f16_e64 v17, v3, v143
	v_fmac_f16_e64 v48, v3, v208
	s_delay_alu instid0(VALU_DEP_4) | instskip(SKIP_3) | instid1(VALU_DEP_4)
	v_add_f16_e32 v0, v13, v8
	v_sub_f16_e32 v1, v11, v8
	v_mul_f16_e32 v75, v108, v2
	v_fma_f16 v78, v101, v208, -v17
	v_fmac_f16_e32 v21, -0.5, v0
	v_sub_f16_e32 v0, v38, v13
	s_delay_alu instid0(VALU_DEP_4) | instskip(SKIP_1) | instid1(VALU_DEP_4)
	v_fmac_f16_e64 v75, v18, v161
	v_mul_f16_e32 v18, v18, v2
	v_fmamk_f16 v81, v82, 0xbb9c, v21
	s_delay_alu instid0(VALU_DEP_4)
	v_add_f16_e32 v43, v0, v1
	v_lshrrev_b32_e32 v1, 16, v99
	v_lshrrev_b32_e32 v0, 16, v24
	v_fma_f16 v77, v108, v161, -v18
	v_sub_f16_e32 v87, v48, v75
	v_fmac_f16_e32 v21, 0x3b9c, v82
	v_fmac_f16_e64 v47, v1, v213
	v_mul_f16_e64 v1, v1, v156
	v_fmac_f16_e64 v42, v0, v206
	v_mul_f16_e64 v0, v0, v147
	v_sub_f16_e32 v88, v78, v77
	v_fmac_f16_e32 v21, 0xb8b4, v85
	v_fma_f16 v72, v99, v213, -v1
	v_lshrrev_b32_e32 v1, 16, v103
	v_fma_f16 v44, v24, v206, -v0
	v_add_f16_e32 v93, v42, v48
	v_fmac_f16_e32 v21, 0x34f2, v43
	v_fmac_f16_e32 v81, 0x38b4, v85
	v_fmac_f16_e64 v71, v1, v215
	v_mul_f16_e64 v1, v1, v154
	v_add_f16_e32 v92, v44, v78
	s_delay_alu instid0(VALU_DEP_4) | instskip(NEXT) | instid1(VALU_DEP_4)
	v_fmac_f16_e32 v81, 0x34f2, v43
	v_sub_f16_e32 v83, v47, v71
	s_delay_alu instid0(VALU_DEP_4) | instskip(NEXT) | instid1(VALU_DEP_1)
	v_fma_f16 v76, v103, v215, -v1
	v_add_f16_e32 v0, v72, v76
	v_sub_f16_e32 v1, v76, v77
	v_sub_f16_e32 v86, v72, v76
	s_delay_alu instid0(VALU_DEP_3) | instskip(SKIP_1) | instid1(VALU_DEP_1)
	v_fma_f16 v45, -0.5, v0, v44
	v_add_f16_e32 v0, v78, v77
	v_fmac_f16_e32 v44, -0.5, v0
	v_sub_f16_e32 v0, v72, v78
	s_delay_alu instid0(VALU_DEP_2) | instskip(NEXT) | instid1(VALU_DEP_2)
	v_fmamk_f16 v90, v83, 0xbb9c, v44
	v_add_f16_e32 v80, v0, v1
	v_add_f16_e32 v0, v47, v71
	v_sub_f16_e32 v1, v71, v75
	v_fmac_f16_e32 v44, 0x3b9c, v83
	v_fmac_f16_e32 v90, 0x38b4, v87
	s_delay_alu instid0(VALU_DEP_4) | instskip(SKIP_1) | instid1(VALU_DEP_4)
	v_fma_f16 v79, -0.5, v0, v42
	v_add_f16_e32 v0, v48, v75
	v_fmac_f16_e32 v44, 0xb8b4, v87
	s_delay_alu instid0(VALU_DEP_4) | instskip(NEXT) | instid1(VALU_DEP_3)
	v_fmac_f16_e32 v90, 0x34f2, v80
	v_fmac_f16_e32 v42, -0.5, v0
	v_sub_f16_e32 v0, v47, v48
	s_delay_alu instid0(VALU_DEP_4) | instskip(NEXT) | instid1(VALU_DEP_3)
	v_fmac_f16_e32 v44, 0x34f2, v80
	v_fmamk_f16 v91, v86, 0x3b9c, v42
	s_delay_alu instid0(VALU_DEP_3) | instskip(SKIP_4) | instid1(VALU_DEP_4)
	v_add_f16_e32 v89, v0, v1
	v_and_b32_e32 v0, 0xff, v16
	v_fmac_f16_e32 v42, 0xbb9c, v86
	v_mul_f16_e32 v1, 0xb4f2, v44
	v_fmac_f16_e32 v91, 0xb8b4, v88
	v_mad_u64_u32 v[32:33], null, v0, 36, s[6:7]
	s_clause 0x1
	global_load_b128 v[24:27], v[32:33], off offset:80
	global_load_b128 v[16:19], v[32:33], off offset:96
	v_fmac_f16_e32 v42, 0x38b4, v88
	global_load_b32 v222, v[32:33], off offset:112
	v_fmac_f16_e32 v91, 0x34f2, v89
	v_fmac_f16_e32 v42, 0x34f2, v89
	s_delay_alu instid0(VALU_DEP_1) | instskip(NEXT) | instid1(VALU_DEP_1)
	v_fmac_f16_e32 v1, 0x3b9c, v42
	v_add_f16_e32 v95, v21, v1
	v_sub_f16_e32 v94, v21, v1
	v_lshrrev_b32_e32 v21, 16, v14
	s_waitcnt vmcnt(2)
	v_lshrrev_b32_e32 v242, 16, v24
	v_lshrrev_b32_e32 v239, 16, v26
	s_waitcnt vmcnt(1)
	v_lshrrev_b32_e32 v106, 16, v16
	;; [unrolled: 3-line block ×3, first 2 shown]
	v_mul_f16_e64 v35, v34, v242
	v_mul_f16_e64 v1, v22, v242
	;; [unrolled: 1-line block ×3, first 2 shown]
	v_mul_f16_e32 v104, v10, v106
	v_mul_f16_e64 v117, v9, v223
	v_fma_f16 v96, v22, v24, -v35
	v_mul_f16_e64 v22, v21, v239
	v_fmac_f16_e32 v1, v34, v24
	v_fmac_f16_e32 v101, v21, v26
	v_lshrrev_b32_e32 v21, 16, v23
	v_lshrrev_b32_e32 v248, 16, v25
	v_fma_f16 v99, v14, v26, -v22
	v_lshrrev_b32_e32 v14, 16, v10
	v_lshrrev_b32_e32 v249, 16, v27
	v_fmac_f16_e64 v117, v20, v222
	v_lshrrev_b32_e32 v231, 16, v17
	v_lshrrev_b32_e32 v233, 16, v19
	v_mul_f16_e32 v22, v14, v106
	v_fmac_f16_e32 v104, v14, v16
	v_mad_u64_u32 v[14:15], null, v113, 36, s[6:7]
	v_sub_f16_e64 v171, v101, v117
	s_delay_alu instid0(VALU_DEP_4)
	v_fma_f16 v103, v10, v16, -v22
	v_lshrrev_b32_e32 v10, 16, v12
	v_add_f16_e64 v163, v1, v101
	global_load_b128 v[32:35], v[14:15], off offset:80
	v_mul_f16_e32 v22, v10, v109
	v_add_f16_e64 v163, v163, v104
	s_delay_alu instid0(VALU_DEP_2) | instskip(SKIP_1) | instid1(VALU_DEP_2)
	v_fma_f16 v108, v12, v18, -v22
	v_mul_f16_e32 v12, v12, v109
	v_sub_f16_e64 v170, v103, v108
	s_delay_alu instid0(VALU_DEP_2) | instskip(SKIP_1) | instid1(VALU_DEP_2)
	v_fmac_f16_e32 v12, v10, v18
	v_mul_f16_e64 v10, v20, v223
	v_sub_f16_e64 v205, v117, v12
	s_delay_alu instid0(VALU_DEP_2) | instskip(SKIP_2) | instid1(VALU_DEP_3)
	v_fma_f16 v114, v9, v222, -v10
	v_sub_f16_e64 v134, v104, v12
	v_add_f16_e64 v163, v163, v12
	v_sub_f16_e64 v155, v114, v108
	v_sub_f16_e32 v125, v99, v114
	s_delay_alu instid0(VALU_DEP_3)
	v_add_f16_e64 v163, v163, v117
	s_waitcnt vmcnt(0)
	v_lshrrev_b32_e32 v235, 16, v32
	v_lshrrev_b32_e32 v241, 16, v33
	;; [unrolled: 1-line block ×4, first 2 shown]
	s_delay_alu instid0(VALU_DEP_4) | instskip(SKIP_1) | instid1(VALU_DEP_2)
	v_mul_f16_e64 v9, v21, v235
	v_mul_f16_e64 v121, v23, v235
	v_fma_f16 v118, v23, v32, -v9
	ds_load_2addr_b32 v[9:10], v50 offset0:88 offset1:188
	v_lshrrev_b32_e32 v23, 16, v100
	v_fmac_f16_e32 v121, v21, v32
	s_waitcnt lgkmcnt(0)
	v_lshrrev_b32_e32 v22, 16, v9
	v_mul_f16_e64 v122, v9, v248
	v_mul_f16_e64 v137, v10, v241
	s_delay_alu instid0(VALU_DEP_2) | instskip(SKIP_1) | instid1(VALU_DEP_1)
	v_fmac_f16_e32 v122, v22, v25
	v_mul_f16_e64 v22, v22, v248
	v_fma_f16 v123, v9, v25, -v22
	v_lshrrev_b32_e32 v22, 16, v10
	s_delay_alu instid0(VALU_DEP_1) | instskip(SKIP_1) | instid1(VALU_DEP_2)
	v_mul_f16_e64 v9, v22, v241
	v_fmac_f16_e64 v137, v22, v33
	v_fma_f16 v124, v10, v33, -v9
	v_mul_f16_e64 v9, v23, v238
	s_delay_alu instid0(VALU_DEP_1) | instskip(SKIP_3) | instid1(VALU_DEP_2)
	v_fma_f16 v158, v100, v34, -v9
	ds_load_2addr_b32 v[9:10], v49 offset0:48 offset1:148
	v_mul_f16_e64 v100, v100, v238
	v_add_f16_e64 v245, v118, v158
	v_fmac_f16_e32 v100, v23, v34
	s_delay_alu instid0(VALU_DEP_1) | instskip(SKIP_4) | instid1(VALU_DEP_2)
	v_add_f16_e64 v250, v121, v100
	s_waitcnt lgkmcnt(0)
	v_lshrrev_b32_e32 v166, 16, v9
	v_mul_f16_e64 v182, v9, v249
	v_mul_f16_e64 v188, v10, v243
	v_fmac_f16_e64 v182, v166, v27
	v_mul_f16_e64 v166, v166, v249
	s_delay_alu instid0(VALU_DEP_1) | instskip(SKIP_1) | instid1(VALU_DEP_1)
	v_fma_f16 v166, v9, v27, -v166
	v_lshrrev_b32_e32 v9, 16, v10
	v_mul_f16_e64 v179, v9, v243
	v_fmac_f16_e64 v188, v9, v35
	s_delay_alu instid0(VALU_DEP_2)
	v_fma_f16 v184, v10, v35, -v179
	s_clause 0x1
	global_load_b32 v179, v[14:15], off offset:112
	global_load_b128 v[20:23], v[14:15], off offset:96
	s_waitcnt vmcnt(1)
	v_lshrrev_b32_e32 v2, 16, v179
	s_waitcnt vmcnt(0)
	v_lshrrev_b32_e32 v227, 16, v20
	v_lshrrev_b32_e32 v230, 16, v21
	;; [unrolled: 1-line block ×4, first 2 shown]
	s_delay_alu instid0(VALU_DEP_4) | instskip(SKIP_1) | instid1(VALU_DEP_2)
	v_mul_f16_e64 v9, v189, v227
	v_mul_f16_e64 v15, v98, v227
	v_fma_f16 v14, v98, v20, -v9
	ds_load_2addr_b32 v[9:10], v144 offset0:8 offset1:108
	v_fmac_f16_e64 v15, v189, v20
	s_waitcnt lgkmcnt(0)
	v_lshrrev_b32_e32 v98, 16, v9
	v_mul_f16_e64 v191, v9, v231
	v_lshrrev_b32_e32 v190, 16, v10
	v_mul_f16_e64 v217, v10, v230
	s_delay_alu instid0(VALU_DEP_3) | instskip(SKIP_1) | instid1(VALU_DEP_3)
	v_fmac_f16_e64 v191, v98, v17
	v_mul_f16_e64 v98, v98, v231
	v_fmac_f16_e64 v217, v190, v21
	s_delay_alu instid0(VALU_DEP_3) | instskip(NEXT) | instid1(VALU_DEP_3)
	v_add_f16_e64 v177, v182, v191
	v_fma_f16 v98, v9, v17, -v98
	v_mul_f16_e64 v9, v190, v230
	s_delay_alu instid0(VALU_DEP_4) | instskip(SKIP_1) | instid1(VALU_DEP_4)
	v_sub_f16_e64 v252, v188, v217
	v_sub_f16_e64 v135, v182, v191
	;; [unrolled: 1-line block ×3, first 2 shown]
	s_delay_alu instid0(VALU_DEP_4) | instskip(SKIP_1) | instid1(VALU_DEP_2)
	v_fma_f16 v195, v10, v21, -v9
	v_mul_f16_e64 v9, v218, v228
	v_add_f16_e64 v189, v184, v195
	s_delay_alu instid0(VALU_DEP_2) | instskip(SKIP_3) | instid1(VALU_DEP_2)
	v_fma_f16 v219, v102, v22, -v9
	ds_load_2addr_b32 v[9:10], v136 offset0:96 offset1:196
	v_mul_f16_e64 v102, v102, v228
	v_sub_f16_e64 v130, v14, v219
	v_fmac_f16_e64 v102, v218, v22
	s_delay_alu instid0(VALU_DEP_1) | instskip(SKIP_4) | instid1(VALU_DEP_2)
	v_sub_f16_e64 v254, v15, v102
	s_waitcnt lgkmcnt(0)
	v_lshrrev_b32_e32 v180, 16, v9
	v_mul_f16_e64 v220, v9, v233
	v_mul_f16_e64 v229, v10, v232
	v_fmac_f16_e64 v220, v180, v19
	v_mul_f16_e64 v180, v180, v233
	s_delay_alu instid0(VALU_DEP_2) | instskip(NEXT) | instid1(VALU_DEP_2)
	v_sub_f16_e64 v159, v220, v191
	v_fma_f16 v221, v9, v19, -v180
	v_lshrrev_b32_e32 v9, 16, v10
	s_delay_alu instid0(VALU_DEP_2) | instskip(NEXT) | instid1(VALU_DEP_2)
	v_sub_f16_e64 v187, v221, v98
	v_mul_f16_e64 v180, v9, v232
	v_fmac_f16_e64 v229, v9, v23
	v_add_f16_e64 v199, v123, v221
	v_sub_f16_e64 v176, v123, v221
	s_delay_alu instid0(VALU_DEP_4) | instskip(SKIP_2) | instid1(VALU_DEP_3)
	v_fma_f16 v226, v10, v23, -v180
	v_lshrrev_b32_e32 v10, 16, v107
	v_sub_f16_e64 v129, v137, v229
	v_sub_f16_e64 v190, v195, v226
	s_delay_alu instid0(VALU_DEP_3) | instskip(NEXT) | instid1(VALU_DEP_1)
	v_mul_f16_e64 v234, v10, v2
	v_fma_f16 v234, v107, v179, -v234
	v_mul_f16_e32 v107, v107, v2
	s_delay_alu instid0(VALU_DEP_2) | instskip(NEXT) | instid1(VALU_DEP_2)
	v_sub_f16_e64 v167, v158, v234
	v_fmac_f16_e64 v107, v10, v179
	ds_load_2addr_b32 v[9:10], v148 offset1:100
	s_waitcnt lgkmcnt(0)
	s_barrier
	buffer_gl0_inv
	v_sub_f16_e64 v128, v100, v107
	v_fma_f16 v218, -0.5, v189, v10
	v_add_f16_e64 v189, v124, v226
	v_lshrrev_b32_e32 v236, 16, v10
	v_add_f16_e64 v237, v10, v124
	v_fma_f16 v199, -0.5, v199, v9
	v_lshrrev_b32_e32 v133, 16, v9
	v_fmac_f16_e64 v10, -0.5, v189
	v_sub_f16_e64 v189, v184, v124
	s_delay_alu instid0(VALU_DEP_3) | instskip(NEXT) | instid1(VALU_DEP_3)
	v_fma_f16 v177, -0.5, v177, v133
	v_fma_f16 v253, 0xbb9c, v252, v10
	s_delay_alu instid0(VALU_DEP_3)
	v_add_f16_e64 v240, v189, v190
	v_add_f16_e64 v189, v14, v219
	v_sub_f16_e64 v190, v219, v234
	v_fmac_f16_e64 v10, 0x3b9c, v252
	v_fma_f16 v138, 0xbb9c, v176, v177
	v_fmac_f16_e64 v177, 0x3b9c, v176
	v_fma_f16 v244, -0.5, v189, v118
	v_add_f16_e64 v189, v158, v234
	v_fmac_f16_e64 v10, 0xb8b4, v129
	v_fmac_f16_e64 v138, 0xb8b4, v139
	;; [unrolled: 1-line block ×4, first 2 shown]
	v_fmac_f16_e64 v118, -0.5, v189
	v_sub_f16_e64 v189, v14, v158
	v_fmac_f16_e64 v10, 0x34f2, v240
	s_delay_alu instid0(VALU_DEP_4) | instskip(NEXT) | instid1(VALU_DEP_4)
	v_fmac_f16_e64 v253, 0x34f2, v240
	v_fma_f16 v255, 0xbb9c, v254, v118
	s_delay_alu instid0(VALU_DEP_4) | instskip(SKIP_4) | instid1(VALU_DEP_4)
	v_add_f16_e64 v246, v189, v190
	v_add_f16_e64 v189, v15, v102
	v_fmac_f16_e64 v118, 0x3b9c, v254
	v_sub_f16_e64 v190, v102, v107
	v_fmac_f16_e64 v255, 0x38b4, v128
	v_fma_f16 v247, -0.5, v189, v121
	v_add_f16_e64 v189, v100, v107
	v_fmac_f16_e64 v118, 0xb8b4, v128
	s_delay_alu instid0(VALU_DEP_4) | instskip(NEXT) | instid1(VALU_DEP_3)
	v_fmac_f16_e64 v255, 0x34f2, v246
	v_fmac_f16_e64 v121, -0.5, v189
	v_sub_f16_e64 v189, v15, v100
	s_delay_alu instid0(VALU_DEP_4) | instskip(NEXT) | instid1(VALU_DEP_3)
	v_fmac_f16_e64 v118, 0x34f2, v246
	v_fma_f16 v131, 0x3b9c, v130, v121
	v_fmac_f16_e64 v121, 0xbb9c, v130
	s_delay_alu instid0(VALU_DEP_4) | instskip(NEXT) | instid1(VALU_DEP_4)
	v_add_f16_e64 v251, v189, v190
	v_mul_f16_e64 v190, 0xb4f2, v118
	v_add_f16_e64 v189, v166, v98
	v_fmac_f16_e64 v131, 0xb8b4, v167
	v_fmac_f16_e64 v121, 0x38b4, v167
	s_delay_alu instid0(VALU_DEP_3) | instskip(SKIP_1) | instid1(VALU_DEP_3)
	v_fma_f16 v189, -0.5, v189, v9
	v_add_f16_e32 v9, v9, v123
	v_fmac_f16_e64 v121, 0x34f2, v251
	v_fmac_f16_e64 v131, 0x34f2, v251
	s_delay_alu instid0(VALU_DEP_2) | instskip(NEXT) | instid1(VALU_DEP_1)
	v_fmac_f16_e64 v190, 0x3b9c, v121
	v_add_f16_e64 v132, v10, v190
	v_sub_f16_e64 v10, v10, v190
	v_sub_f16_e64 v190, v123, v166
	;; [unrolled: 1-line block ×3, first 2 shown]
	s_delay_alu instid0(VALU_DEP_2) | instskip(SKIP_1) | instid1(VALU_DEP_1)
	v_add_f16_e64 v187, v190, v187
	v_sub_f16_e64 v190, v122, v182
	v_add_f16_e64 v159, v190, v159
	v_sub_f16_e64 v190, v99, v103
	s_delay_alu instid0(VALU_DEP_2) | instskip(NEXT) | instid1(VALU_DEP_2)
	v_fmac_f16_e64 v138, 0x34f2, v159
	v_add_f16_e64 v155, v190, v155
	v_sub_f16_e64 v190, v101, v104
	v_fmac_f16_e64 v177, 0x34f2, v159
	s_delay_alu instid0(VALU_DEP_2) | instskip(SKIP_1) | instid1(VALU_DEP_1)
	v_add_f16_e64 v205, v190, v205
	v_add_f16_e64 v190, v103, v108
	v_fma_f16 v168, -0.5, v190, v96
	v_add_f16_e64 v190, v104, v12
	v_sub_f16_e32 v12, v12, v117
	s_delay_alu instid0(VALU_DEP_3) | instskip(NEXT) | instid1(VALU_DEP_3)
	v_fma_f16 v172, 0x3b9c, v171, v168
	v_fma_f16 v169, -0.5, v190, v1
	v_fmac_f16_e64 v168, 0xbb9c, v171
	s_delay_alu instid0(VALU_DEP_3) | instskip(NEXT) | instid1(VALU_DEP_3)
	v_fmac_f16_e64 v172, 0x38b4, v134
	v_fma_f16 v190, 0xbb9c, v125, v169
	v_fmac_f16_e64 v169, 0x3b9c, v125
	s_delay_alu instid0(VALU_DEP_4) | instskip(NEXT) | instid1(VALU_DEP_4)
	v_fmac_f16_e64 v168, 0xb8b4, v134
	v_fmac_f16_e64 v172, 0x34f2, v155
	s_delay_alu instid0(VALU_DEP_4) | instskip(NEXT) | instid1(VALU_DEP_4)
	v_fmac_f16_e64 v190, 0xb8b4, v170
	v_fmac_f16_e64 v169, 0x38b4, v170
	s_delay_alu instid0(VALU_DEP_4) | instskip(NEXT) | instid1(VALU_DEP_3)
	v_fmac_f16_e64 v168, 0x34f2, v155
	v_fmac_f16_e64 v190, 0x34f2, v205
	s_delay_alu instid0(VALU_DEP_3) | instskip(NEXT) | instid1(VALU_DEP_2)
	v_fmac_f16_e64 v169, 0x34f2, v205
	v_mul_f16_e64 v173, 0x38b4, v190
	s_delay_alu instid0(VALU_DEP_1) | instskip(SKIP_1) | instid1(VALU_DEP_1)
	v_fmac_f16_e64 v173, 0x3a79, v172
	v_mul_f16_e64 v172, 0xb8b4, v172
	v_fmac_f16_e64 v172, 0x3a79, v190
	v_add_lshl_u32 v190, v39, v0, 2
	v_add_f16_e64 v0, v9, v166
	v_add_f16_e64 v9, v133, v122
	v_add_f16_e32 v39, v96, v99
	v_add_f16_e64 v150, v138, v172
	v_add_nc_u32_e32 v2, 0x200, v190
	v_add_f16_e32 v0, v0, v98
	v_add_f16_e64 v9, v9, v182
	v_add_f16_e32 v39, v39, v103
	v_sub_f16_e64 v98, v98, v221
	v_sub_f16_e32 v103, v103, v99
	v_add_f16_e64 v0, v0, v221
	v_add_f16_e64 v9, v9, v191
	v_add_f16_e32 v39, v39, v108
	v_add_f16_e32 v98, v123, v98
	v_sub_f16_e64 v123, v182, v122
	v_add_f16_e32 v99, v99, v114
	v_add_f16_e64 v9, v9, v220
	v_add_f16_e32 v39, v39, v114
	v_sub_f16_e32 v108, v108, v114
	scratch_store_b32 off, v2, off offset:296 ; 4-byte Folded Spill
	v_fmac_f16_e32 v96, -0.5, v99
	v_add_f16_e64 v152, v9, v163
	v_add_f16_e64 v174, v0, v39
	v_add_f16_e32 v99, v101, v117
	v_sub_f16_e32 v0, v0, v39
	v_sub_f16_e64 v9, v9, v163
	s_delay_alu instid0(VALU_DEP_4)
	v_pack_b32_f16 v152, v174, v152
	v_sub_f16_e64 v174, v122, v220
	v_add_f16_e64 v122, v122, v220
	v_fmac_f16_e32 v1, -0.5, v99
	v_sub_f16_e32 v99, v104, v101
	v_fma_f16 v101, 0xbb9c, v134, v96
	v_fma_f16 v175, 0x3b9c, v174, v189
	v_fmac_f16_e64 v133, -0.5, v122
	v_fmac_f16_e64 v96, 0x3b9c, v134
	v_add_f16_e32 v12, v99, v12
	v_fmac_f16_e64 v101, 0x38b4, v171
	v_fmac_f16_e64 v175, 0x38b4, v135
	v_fma_f16 v114, 0x3b9c, v139, v133
	v_fmac_f16_e64 v133, 0xbb9c, v139
	v_fmac_f16_e64 v96, 0xb8b4, v171
	;; [unrolled: 1-line block ×6, first 2 shown]
	v_pack_b32_f16 v0, v0, v9
	v_fmac_f16_e64 v189, 0xb8b4, v135
	v_add_f16_e64 v140, v175, v173
	v_fma_f16 v104, 0x3b9c, v129, v218
	v_fmac_f16_e64 v218, 0xbb9c, v129
	s_delay_alu instid0(VALU_DEP_4) | instskip(NEXT) | instid1(VALU_DEP_4)
	v_fmac_f16_e64 v189, 0x34f2, v187
	v_pack_b32_f16 v140, v140, v150
	v_fma_f16 v150, 0xbb9c, v135, v199
	v_fmac_f16_e64 v199, 0x3b9c, v135
	v_fmac_f16_e64 v104, 0x38b4, v252
	;; [unrolled: 1-line block ×3, first 2 shown]
	ds_store_2addr_b32 v190, v152, v140 offset1:30
	v_sub_f16_e64 v140, v191, v220
	v_fmac_f16_e64 v150, 0x38b4, v174
	v_fmac_f16_e64 v199, 0xb8b4, v174
	s_delay_alu instid0(VALU_DEP_2) | instskip(NEXT) | instid1(VALU_DEP_2)
	v_fmac_f16_e64 v150, 0x34f2, v98
	v_fmac_f16_e64 v199, 0x34f2, v98
	v_add_f16_e64 v98, v123, v140
	s_delay_alu instid0(VALU_DEP_1) | instskip(SKIP_2) | instid1(VALU_DEP_1)
	v_fmac_f16_e32 v114, 0x34f2, v98
	v_fmac_f16_e64 v133, 0x34f2, v98
	v_add_f16_e32 v98, v103, v108
	v_fmac_f16_e32 v101, 0x34f2, v98
	v_fmac_f16_e32 v96, 0x34f2, v98
	v_fma_f16 v98, 0x3b9c, v170, v1
	v_fmac_f16_e64 v1, 0xbb9c, v170
	s_delay_alu instid0(VALU_DEP_4) | instskip(NEXT) | instid1(VALU_DEP_3)
	v_mul_f16_e32 v99, 0xbb9c, v101
	v_fmac_f16_e32 v98, 0xb8b4, v125
	s_delay_alu instid0(VALU_DEP_3) | instskip(NEXT) | instid1(VALU_DEP_2)
	v_fmac_f16_e32 v1, 0x38b4, v125
	v_fmac_f16_e32 v98, 0x34f2, v12
	s_delay_alu instid0(VALU_DEP_2) | instskip(NEXT) | instid1(VALU_DEP_2)
	v_fmac_f16_e32 v1, 0x34f2, v12
	v_mul_f16_e32 v12, 0x3b9c, v98
	v_fmac_f16_e32 v99, 0x34f2, v98
	v_mul_f16_e32 v98, 0xb4f2, v96
	s_delay_alu instid0(VALU_DEP_3) | instskip(NEXT) | instid1(VALU_DEP_3)
	v_fmac_f16_e32 v12, 0x34f2, v101
	v_add_f16_e32 v101, v114, v99
	s_delay_alu instid0(VALU_DEP_3) | instskip(SKIP_1) | instid1(VALU_DEP_4)
	v_fmac_f16_e32 v98, 0x3b9c, v1
	v_mul_f16_e32 v1, 0xb4f2, v1
	v_sub_f16_e64 v9, v150, v12
	s_delay_alu instid0(VALU_DEP_2) | instskip(SKIP_2) | instid1(VALU_DEP_3)
	v_fmac_f16_e32 v1, 0xbb9c, v96
	v_add_f16_e64 v96, v150, v12
	v_sub_f16_e64 v12, v138, v172
	v_add_f16_e64 v103, v133, v1
	s_delay_alu instid0(VALU_DEP_3) | instskip(SKIP_2) | instid1(VALU_DEP_2)
	v_pack_b32_f16 v96, v96, v101
	v_add_f16_e64 v101, v199, v98
	v_sub_f16_e64 v1, v133, v1
	v_pack_b32_f16 v101, v101, v103
	ds_store_2addr_b32 v190, v96, v101 offset0:60 offset1:90
	v_mul_f16_e64 v96, 0xba79, v168
	v_mul_f16_e64 v101, 0xba79, v169
	s_delay_alu instid0(VALU_DEP_2) | instskip(NEXT) | instid1(VALU_DEP_2)
	v_fmac_f16_e64 v96, 0x38b4, v169
	v_fmac_f16_e64 v101, 0xb8b4, v168
	s_delay_alu instid0(VALU_DEP_2) | instskip(NEXT) | instid1(VALU_DEP_2)
	v_add_f16_e64 v39, v189, v96
	v_add_f16_e64 v103, v177, v101
	s_delay_alu instid0(VALU_DEP_1) | instskip(SKIP_4) | instid1(VALU_DEP_3)
	v_pack_b32_f16 v39, v39, v103
	ds_store_2addr_b32 v190, v39, v0 offset0:120 offset1:150
	v_sub_f16_e64 v0, v175, v173
	v_sub_f16_e32 v39, v114, v99
	v_sub_f16_e32 v99, v107, v102
	v_pack_b32_f16 v0, v0, v12
	s_delay_alu instid0(VALU_DEP_3)
	v_pack_b32_f16 v9, v9, v39
	v_sub_f16_e64 v39, v137, v188
	v_sub_f16_e64 v12, v177, v101
	ds_store_2addr_b32 v190, v0, v9 offset0:180 offset1:210
	v_sub_f16_e64 v9, v189, v96
	v_sub_f16_e64 v96, v229, v217
	;; [unrolled: 1-line block ×4, first 2 shown]
	s_delay_alu instid0(VALU_DEP_3)
	v_add_f16_e32 v39, v39, v96
	v_add_f16_e64 v96, v245, v14
	v_sub_f16_e64 v14, v158, v14
	v_pack_b32_f16 v0, v0, v1
	v_pack_b32_f16 v1, v9, v12
	v_sub_f16_e64 v9, v124, v226
	v_add_f16_e64 v96, v96, v219
	v_add_f16_e32 v14, v14, v98
	v_add_f16_e64 v98, v250, v15
	v_sub_f16_e32 v15, v100, v15
	v_fma_f16 v100, 0x3b9c, v128, v244
	ds_store_2addr_b32 v2, v0, v1 offset0:112 offset1:142
	v_sub_f16_e64 v0, v124, v184
	v_sub_f16_e64 v1, v226, v195
	v_add_f16_e32 v15, v15, v99
	v_fma_f16 v99, 0xbb9c, v167, v247
	v_fmac_f16_e64 v100, 0x38b4, v254
	v_add_f16_e32 v98, v98, v102
	v_add_f16_e32 v0, v0, v1
	v_add_f16_e64 v1, v237, v184
	v_fmac_f16_e64 v99, 0xb8b4, v130
	v_fmac_f16_e32 v100, 0x34f2, v14
	v_add_f16_e64 v96, v96, v234
	v_add_f16_e32 v98, v98, v107
	v_add_f16_e64 v1, v1, v195
	v_fmac_f16_e32 v99, 0x34f2, v15
	v_sub_f16_e64 v12, v184, v195
	v_fmac_f16_e32 v104, 0x34f2, v0
	v_fmac_f16_e64 v244, 0xbb9c, v128
	v_add_f16_e64 v1, v1, v226
	v_mul_f16_e32 v101, 0x38b4, v99
	v_fmac_f16_e64 v247, 0x3b9c, v167
	v_fmac_f16_e64 v218, 0x34f2, v0
	;; [unrolled: 1-line block ×3, first 2 shown]
	v_add_f16_e32 v102, v1, v96
	v_fmac_f16_e32 v101, 0x3a79, v100
	v_mul_f16_e32 v100, 0xb8b4, v100
	v_fmac_f16_e64 v247, 0x38b4, v130
	v_fmac_f16_e64 v244, 0x34f2, v14
	v_sub_f16_e32 v1, v1, v96
	v_add_f16_e32 v108, v104, v101
	v_fmac_f16_e32 v100, 0x3a79, v99
	v_and_b32_e32 v99, 0xffff, v111
	v_fmac_f16_e64 v247, 0x34f2, v15
	v_mul_f16_e64 v0, 0xba79, v244
	s_delay_alu instid0(VALU_DEP_3) | instskip(NEXT) | instid1(VALU_DEP_2)
	v_mul_u32_u24_e32 v99, 0x12c, v99
	v_fmac_f16_e64 v0, 0x38b4, v247
	s_delay_alu instid0(VALU_DEP_2) | instskip(SKIP_1) | instid1(VALU_DEP_3)
	v_add_lshl_u32 v189, v99, v113, 2
	v_add_f16_e64 v99, v236, v137
	v_add_f16_e64 v14, v218, v0
	v_mul_f16_e32 v113, 0xb4f2, v121
	v_sub_f16_e64 v0, v218, v0
	v_add_nc_u32_e32 v2, 0x200, v189
	v_add_f16_e64 v99, v99, v188
	s_delay_alu instid0(VALU_DEP_4) | instskip(SKIP_2) | instid1(VALU_DEP_1)
	v_fmac_f16_e32 v113, 0xbb9c, v118
	scratch_store_b32 off, v2, off offset:292 ; 4-byte Folded Spill
	v_add_f16_e64 v99, v99, v217
	v_add_f16_e64 v99, v99, v229
	s_delay_alu instid0(VALU_DEP_1) | instskip(NEXT) | instid1(VALU_DEP_1)
	v_add_f16_e32 v103, v99, v98
	v_pack_b32_f16 v102, v102, v103
	v_add_f16_e64 v103, v188, v217
	s_delay_alu instid0(VALU_DEP_1) | instskip(NEXT) | instid1(VALU_DEP_1)
	v_fma_f16 v103, -0.5, v103, v236
	v_fmamk_f16 v107, v9, 0xbb9c, v103
	v_fmac_f16_e32 v103, 0x3b9c, v9
	s_delay_alu instid0(VALU_DEP_2) | instskip(NEXT) | instid1(VALU_DEP_2)
	v_fmac_f16_e32 v107, 0xb8b4, v12
	v_fmac_f16_e32 v103, 0x38b4, v12
	s_delay_alu instid0(VALU_DEP_2) | instskip(NEXT) | instid1(VALU_DEP_2)
	v_fmac_f16_e32 v107, 0x34f2, v39
	v_fmac_f16_e32 v103, 0x34f2, v39
	s_delay_alu instid0(VALU_DEP_2) | instskip(NEXT) | instid1(VALU_DEP_1)
	v_add_f16_e32 v111, v107, v100
	v_pack_b32_f16 v108, v108, v111
	v_mul_f16_e64 v111, 0xbb9c, v255
	ds_store_2addr_b32 v189, v102, v108 offset1:30
	v_add_f16_e64 v102, v137, v229
	v_sub_f16_e64 v108, v217, v229
	v_fmac_f16_e64 v111, 0x34f2, v131
	s_delay_alu instid0(VALU_DEP_3) | instskip(SKIP_1) | instid1(VALU_DEP_1)
	v_fmac_f16_e64 v236, -0.5, v102
	v_sub_f16_e64 v102, v188, v137
	v_add_f16_e32 v102, v102, v108
	s_delay_alu instid0(VALU_DEP_3) | instskip(SKIP_2) | instid1(VALU_DEP_3)
	v_fma_f16 v108, 0x3b9c, v12, v236
	v_fmac_f16_e64 v236, 0xbb9c, v12
	v_sub_f16_e32 v12, v99, v98
	v_fmac_f16_e32 v108, 0xb8b4, v9
	s_delay_alu instid0(VALU_DEP_3) | instskip(SKIP_1) | instid1(VALU_DEP_4)
	v_fmac_f16_e64 v236, 0x38b4, v9
	v_mul_f16_e64 v9, 0xba79, v247
	v_pack_b32_f16 v1, v1, v12
	s_delay_alu instid0(VALU_DEP_4) | instskip(NEXT) | instid1(VALU_DEP_4)
	v_fmac_f16_e32 v108, 0x34f2, v102
	v_fmac_f16_e64 v236, 0x34f2, v102
	s_delay_alu instid0(VALU_DEP_4) | instskip(SKIP_1) | instid1(VALU_DEP_4)
	v_fmac_f16_e64 v9, 0xb8b4, v244
	v_mul_f16_e64 v102, 0x3b9c, v131
	v_add_f16_e32 v117, v108, v111
	s_delay_alu instid0(VALU_DEP_3) | instskip(NEXT) | instid1(VALU_DEP_3)
	v_add_f16_e32 v15, v103, v9
	v_fmac_f16_e64 v102, 0x34f2, v255
	v_sub_f16_e32 v9, v103, v9
	s_delay_alu instid0(VALU_DEP_3) | instskip(NEXT) | instid1(VALU_DEP_3)
	v_pack_b32_f16 v14, v14, v15
	v_sub_f16_e64 v12, v253, v102
	v_sub_f16_e32 v15, v108, v111
	s_delay_alu instid0(VALU_DEP_4)
	v_pack_b32_f16 v0, v0, v9
	v_sub_f16_e32 v9, v38, v11
	ds_store_2addr_b32 v189, v14, v1 offset0:120 offset1:150
	v_sub_f16_e32 v1, v104, v101
	v_sub_f16_e32 v14, v107, v100
	v_pack_b32_f16 v12, v12, v15
	v_sub_f16_e32 v15, v75, v71
	v_add_f16_e64 v114, v253, v102
	s_delay_alu instid0(VALU_DEP_4) | instskip(SKIP_1) | instid1(VALU_DEP_3)
	v_pack_b32_f16 v1, v1, v14
	v_sub_f16_e32 v14, v48, v47
	v_pack_b32_f16 v114, v114, v117
	v_add_f16_e64 v117, v236, v113
	ds_store_2addr_b32 v189, v1, v12 offset0:180 offset1:210
	v_sub_f16_e64 v1, v236, v113
	v_add_f16_e32 v14, v14, v15
	v_fmamk_f16 v15, v88, 0xbb9c, v79
	v_sub_f16_e32 v12, v78, v72
	v_fmac_f16_e32 v79, 0x3b9c, v88
	v_pack_b32_f16 v1, v10, v1
	v_sub_f16_e32 v10, v31, v28
	v_fmac_f16_e32 v15, 0xb8b4, v86
	v_pack_b32_f16 v117, v132, v117
	v_fmac_f16_e32 v79, 0x38b4, v86
	ds_store_2addr_b32 v2, v1, v0 offset0:112 offset1:142
	v_sub_f16_e32 v0, v13, v38
	v_sub_f16_e32 v1, v8, v11
	v_fmac_f16_e32 v15, 0x34f2, v14
	v_fmac_f16_e32 v79, 0x34f2, v14
	ds_store_2addr_b32 v189, v114, v117 offset0:60 offset1:90
	v_add_f16_e32 v0, v0, v1
	v_add_f16_e32 v1, v46, v38
	v_fmamk_f16 v38, v87, 0x3b9c, v45
	v_mul_f16_e32 v39, 0x38b4, v15
	v_fmac_f16_e32 v45, 0xbb9c, v87
	s_delay_alu instid0(VALU_DEP_4) | instskip(NEXT) | instid1(VALU_DEP_4)
	v_add_f16_e32 v1, v1, v11
	v_fmac_f16_e32 v38, 0x38b4, v83
	v_sub_f16_e32 v11, v37, v36
	s_delay_alu instid0(VALU_DEP_4) | instskip(NEXT) | instid1(VALU_DEP_4)
	v_fmac_f16_e32 v45, 0xb8b4, v83
	v_add_f16_e32 v1, v1, v8
	v_sub_f16_e32 v8, v13, v8
	v_sub_f16_e32 v13, v77, v76
	v_add_f16_e32 v10, v10, v11
	v_add_f16_e32 v11, v92, v72
	s_delay_alu instid0(VALU_DEP_3) | instskip(SKIP_1) | instid1(VALU_DEP_3)
	v_add_f16_e32 v12, v12, v13
	v_add_f16_e32 v13, v93, v47
	;; [unrolled: 1-line block ×3, first 2 shown]
	v_fmamk_f16 v47, v85, 0x3b9c, v40
	v_fmac_f16_e32 v40, 0xbb9c, v85
	v_fmac_f16_e32 v38, 0x34f2, v12
	v_add_f16_e32 v13, v13, v71
	v_add_f16_e32 v11, v11, v77
	v_fmac_f16_e32 v47, 0x38b4, v82
	v_fmac_f16_e32 v40, 0xb8b4, v82
	;; [unrolled: 1-line block ×3, first 2 shown]
	v_mul_f16_e32 v38, 0xb8b4, v38
	v_add_f16_e32 v13, v13, v75
	v_fmac_f16_e32 v47, 0x34f2, v0
	v_fmac_f16_e32 v45, 0x34f2, v12
	;; [unrolled: 1-line block ×4, first 2 shown]
	v_mad_u16 v15, 0x12c, v29, v30
	v_add_f16_e32 v29, v41, v31
	v_add_f16_e32 v30, v1, v11
	;; [unrolled: 1-line block ×3, first 2 shown]
	v_mul_f16_e32 v0, 0xba79, v45
	v_and_b32_e32 v15, 0xffff, v15
	v_add_f16_e32 v29, v29, v28
	v_sub_f16_e32 v1, v1, v11
	s_delay_alu instid0(VALU_DEP_4) | instskip(NEXT) | instid1(VALU_DEP_4)
	v_fmac_f16_e32 v0, 0x38b4, v79
	v_lshlrev_b32_e32 v182, 2, v15
	s_delay_alu instid0(VALU_DEP_4) | instskip(SKIP_1) | instid1(VALU_DEP_3)
	v_add_f16_e32 v29, v29, v36
	v_add_f16_e32 v15, v31, v37
	v_add_nc_u32_e32 v2, 0x200, v182
	s_delay_alu instid0(VALU_DEP_3) | instskip(SKIP_2) | instid1(VALU_DEP_1)
	v_add_f16_e32 v29, v29, v37
	scratch_store_b32 off, v2, off offset:288 ; 4-byte Folded Spill
	v_add_f16_e32 v46, v29, v13
	v_pack_b32_f16 v30, v30, v46
	v_add_f16_e32 v46, v28, v36
	s_delay_alu instid0(VALU_DEP_1)
	v_fma_f16 v46, -0.5, v46, v41
	v_fmac_f16_e32 v41, -0.5, v15
	v_sub_f16_e32 v15, v28, v31
	v_sub_f16_e32 v28, v36, v37
	v_mul_f16_e32 v31, 0xb4f2, v42
	v_fmamk_f16 v48, v8, 0xbb9c, v46
	v_fmac_f16_e32 v46, 0x3b9c, v8
	s_delay_alu instid0(VALU_DEP_4) | instskip(SKIP_1) | instid1(VALU_DEP_4)
	v_add_f16_e32 v15, v15, v28
	v_fmamk_f16 v28, v9, 0x3b9c, v41
	v_fmac_f16_e32 v48, 0xb8b4, v9
	v_fmac_f16_e32 v41, 0xbb9c, v9
	;; [unrolled: 1-line block ×7, first 2 shown]
	v_mul_f16_e32 v8, 0xba79, v79
	v_fmac_f16_e32 v46, 0x34f2, v10
	v_fmac_f16_e32 v28, 0x34f2, v15
	v_add_f16_e32 v72, v48, v38
	v_fmac_f16_e32 v41, 0x34f2, v15
	v_mul_f16_e32 v15, 0x3b9c, v91
	v_fmac_f16_e32 v8, 0xb8b4, v45
	v_sub_f16_e32 v9, v29, v13
	v_pack_b32_f16 v71, v71, v72
	v_add_f16_e32 v10, v40, v0
	v_fmac_f16_e32 v15, 0x34f2, v90
	v_add_f16_e32 v11, v46, v8
	v_pack_b32_f16 v1, v1, v9
	ds_store_2addr_b32 v182, v30, v71 offset1:30
	v_mul_f16_e32 v30, 0xbb9c, v90
	v_add_f16_e32 v36, v81, v15
	v_pack_b32_f16 v10, v10, v11
	v_sub_f16_e32 v9, v81, v15
	v_sub_f16_e32 v0, v40, v0
	v_fmac_f16_e32 v30, 0x34f2, v91
	v_sub_f16_e32 v8, v46, v8
	ds_store_2addr_b32 v182, v10, v1 offset0:120 offset1:150
	v_sub_f16_e32 v1, v47, v39
	v_sub_f16_e32 v10, v48, v38
	v_add_f16_e32 v37, v28, v30
	v_sub_f16_e32 v11, v28, v30
	v_pack_b32_f16 v0, v0, v8
	s_delay_alu instid0(VALU_DEP_4) | instskip(NEXT) | instid1(VALU_DEP_4)
	v_pack_b32_f16 v1, v1, v10
	v_pack_b32_f16 v36, v36, v37
	v_add_f16_e32 v37, v41, v31
	v_pack_b32_f16 v9, v9, v11
	s_delay_alu instid0(VALU_DEP_2)
	v_pack_b32_f16 v37, v95, v37
	ds_store_2addr_b32 v182, v1, v9 offset0:180 offset1:210
	v_sub_f16_e32 v1, v41, v31
	ds_store_2addr_b32 v182, v36, v37 offset0:60 offset1:90
	v_mad_u64_u32 v[36:37], null, v151, 36, s[6:7]
	v_pack_b32_f16 v1, v94, v1
	ds_store_2addr_b32 v2, v1, v0 offset0:112 offset1:142
	v_add_co_u32 v8, vcc_lo, 0x1c20, v36
	v_add_co_ci_u32_e32 v9, vcc_lo, 0, v37, vcc_lo
	s_waitcnt lgkmcnt(0)
	s_waitcnt_vscnt null, 0x0
	s_barrier
	buffer_gl0_inv
	s_clause 0x2
	global_load_b32 v166, v[8:9], off offset:1192
	global_load_b128 v[12:15], v[8:9], off offset:1160
	global_load_b128 v[218:221], v[8:9], off offset:1176
	ds_load_2addr_b32 v[43:44], v149 offset0:120 offset1:220
	ds_load_2addr_b32 v[45:46], v110 offset0:80 offset1:180
	;; [unrolled: 1-line block ×9, first 2 shown]
	s_waitcnt lgkmcnt(8)
	v_lshrrev_b32_e32 v0, 16, v43
	s_waitcnt lgkmcnt(5)
	v_lshrrev_b32_e32 v28, 16, v38
	;; [unrolled: 2-line block ×6, first 2 shown]
	s_waitcnt vmcnt(2)
	v_lshrrev_b32_e32 v217, 16, v166
	s_waitcnt vmcnt(1)
	v_lshrrev_b32_e32 v1, 16, v15
	;; [unrolled: 2-line block ×3, first 2 shown]
	v_lshrrev_b32_e32 v195, 16, v13
	v_lshrrev_b32_e32 v116, 16, v12
	;; [unrolled: 1-line block ×3, first 2 shown]
	v_mul_f16_e32 v75, v43, v1
	v_mul_f16_e32 v76, v45, v2
	v_mul_f16_e64 v80, v71, v195
	v_mul_f16_e32 v91, v99, v116
	v_mul_f16_e64 v83, v246, v126
	v_fmac_f16_e32 v75, v0, v15
	v_mul_f16_e32 v0, v0, v1
	v_lshrrev_b32_e32 v1, 16, v71
	v_lshrrev_b32_e32 v112, 16, v14
	;; [unrolled: 1-line block ×3, first 2 shown]
	s_delay_alu instid0(VALU_DEP_4)
	v_fma_f16 v78, v43, v15, -v0
	v_lshrrev_b32_e32 v0, 16, v45
	v_fmac_f16_e32 v80, v1, v13
	v_mul_f16_e64 v1, v1, v195
	v_mul_f16_e32 v101, v114, v112
	v_mul_f16_e64 v86, v251, v120
	v_fmac_f16_e64 v76, v0, v219
	v_mul_f16_e32 v0, v0, v2
	v_lshrrev_b32_e32 v2, 16, v221
	v_fma_f16 v81, v71, v13, -v1
	s_delay_alu instid0(VALU_DEP_4) | instskip(NEXT) | instid1(VALU_DEP_4)
	v_sub_f16_e32 v102, v75, v76
	v_fma_f16 v79, v45, v219, -v0
	s_delay_alu instid0(VALU_DEP_4) | instskip(NEXT) | instid1(VALU_DEP_4)
	v_mul_f16_e32 v77, v38, v2
	v_add_f16_e64 v158, v47, v81
	v_lshrrev_b32_e32 v45, 16, v48
	s_delay_alu instid0(VALU_DEP_4) | instskip(NEXT) | instid1(VALU_DEP_4)
	v_add_f16_e32 v0, v78, v79
	v_fmac_f16_e64 v77, v28, v221
	v_mul_f16_e32 v28, v28, v2
	s_delay_alu instid0(VALU_DEP_3) | instskip(NEXT) | instid1(VALU_DEP_3)
	v_fma_f16 v82, -0.5, v0, v47
	v_sub_f16_e32 v11, v80, v77
	s_delay_alu instid0(VALU_DEP_3) | instskip(NEXT) | instid1(VALU_DEP_1)
	v_fma_f16 v71, v38, v221, -v28
	v_add_f16_e32 v0, v81, v71
	v_sub_f16_e32 v1, v79, v71
	s_delay_alu instid0(VALU_DEP_2) | instskip(SKIP_1) | instid1(VALU_DEP_2)
	v_fmac_f16_e32 v47, -0.5, v0
	v_sub_f16_e32 v0, v78, v81
	v_fmamk_f16 v96, v102, 0xbb9c, v47
	s_delay_alu instid0(VALU_DEP_2) | instskip(SKIP_4) | instid1(VALU_DEP_4)
	v_add_f16_e32 v93, v0, v1
	v_lshrrev_b32_e32 v0, 16, v99
	v_lshrrev_b32_e32 v1, 16, v114
	v_fmac_f16_e32 v47, 0x3b9c, v102
	v_fmac_f16_e32 v96, 0x38b4, v11
	;; [unrolled: 1-line block ×3, first 2 shown]
	v_mul_f16_e32 v28, v0, v116
	v_lshrrev_b32_e32 v0, 16, v246
	v_fmac_f16_e32 v101, v1, v14
	v_mul_f16_e32 v29, v1, v112
	v_fmac_f16_e32 v47, 0xb8b4, v11
	v_fma_f16 v92, v99, v12, -v28
	v_fmac_f16_e64 v83, v0, v218
	v_mul_f16_e32 v0, v0, v126
	v_fma_f16 v103, v114, v14, -v29
	v_add_f16_e32 v100, v91, v101
	v_fmac_f16_e32 v47, 0x34f2, v93
	v_fmac_f16_e32 v96, 0x34f2, v93
	v_fma_f16 v88, v246, v218, -v0
	v_lshrrev_b32_e32 v0, 16, v251
	v_add_f16_e32 v95, v92, v103
	v_add_co_u32 v246, vcc_lo, 0xe10, v36
	v_add_co_ci_u32_e32 v247, vcc_lo, 0, v37, vcc_lo
	s_delay_alu instid0(VALU_DEP_4)
	v_fmac_f16_e64 v86, v0, v220
	v_mul_f16_e32 v30, v0, v120
	ds_load_2addr_b32 v[0:1], v97 offset0:112 offset1:212
	v_add_f16_e32 v93, v121, v80
	v_sub_f16_e32 v124, v83, v86
	v_fma_f16 v90, v251, v220, -v30
	s_delay_alu instid0(VALU_DEP_1) | instskip(SKIP_3) | instid1(VALU_DEP_1)
	v_sub_f16_e32 v104, v88, v90
	s_waitcnt lgkmcnt(0)
	v_lshrrev_b32_e32 v31, 16, v1
	v_mul_f16_e64 v87, v1, v217
	v_fmac_f16_e64 v87, v31, v166
	v_mul_f16_e64 v31, v31, v217
	s_delay_alu instid0(VALU_DEP_2) | instskip(NEXT) | instid1(VALU_DEP_2)
	v_sub_f16_e32 v114, v101, v87
	v_fma_f16 v89, v1, v166, -v31
	v_add_f16_e32 v1, v88, v90
	s_delay_alu instid0(VALU_DEP_2) | instskip(NEXT) | instid1(VALU_DEP_2)
	v_sub_f16_e32 v28, v90, v89
	v_fma_f16 v94, -0.5, v1, v92
	v_add_f16_e32 v1, v103, v89
	v_sub_f16_e32 v117, v103, v89
	s_delay_alu instid0(VALU_DEP_2) | instskip(SKIP_2) | instid1(VALU_DEP_3)
	v_fmac_f16_e32 v92, -0.5, v1
	v_sub_f16_e32 v1, v88, v103
	v_sub_f16_e32 v103, v103, v88
	v_fmamk_f16 v122, v124, 0xbb9c, v92
	s_delay_alu instid0(VALU_DEP_3) | instskip(SKIP_4) | instid1(VALU_DEP_4)
	v_add_f16_e32 v111, v1, v28
	v_add_f16_e32 v1, v83, v86
	v_sub_f16_e32 v28, v86, v87
	v_fmac_f16_e32 v92, 0x3b9c, v124
	v_fmac_f16_e32 v122, 0x38b4, v114
	v_fma_f16 v99, -0.5, v1, v91
	v_add_f16_e32 v1, v101, v87
	s_delay_alu instid0(VALU_DEP_4) | instskip(NEXT) | instid1(VALU_DEP_4)
	v_fmac_f16_e32 v92, 0xb8b4, v114
	v_fmac_f16_e32 v122, 0x34f2, v111
	s_delay_alu instid0(VALU_DEP_3) | instskip(SKIP_1) | instid1(VALU_DEP_4)
	v_fmac_f16_e32 v91, -0.5, v1
	v_sub_f16_e32 v1, v83, v101
	v_fmac_f16_e32 v92, 0x34f2, v111
	v_sub_f16_e32 v101, v101, v83
	v_mul_f16_e32 v111, 0xbb9c, v122
	v_fmamk_f16 v123, v104, 0x3b9c, v91
	v_add_f16_e64 v137, v1, v28
	s_clause 0x1
	global_load_b128 v[40:43], v[36:37], off offset:1160
	global_load_b128 v[28:31], v[36:37], off offset:1176
	v_fmac_f16_e32 v91, 0xbb9c, v104
	v_mul_f16_e32 v38, 0xb4f2, v92
	global_load_b32 v226, v[36:37], off offset:1192
	v_lshrrev_b32_e32 v36, 16, v46
	v_fmac_f16_e32 v123, 0xb8b4, v117
	v_fmac_f16_e32 v91, 0x38b4, v117
	s_delay_alu instid0(VALU_DEP_2) | instskip(NEXT) | instid1(VALU_DEP_2)
	v_fmac_f16_e64 v123, 0x34f2, v137
	v_fmac_f16_e64 v91, 0x34f2, v137
	s_delay_alu instid0(VALU_DEP_2) | instskip(NEXT) | instid1(VALU_DEP_2)
	v_fmac_f16_e32 v111, 0x34f2, v123
	v_fmac_f16_e32 v38, 0x3b9c, v91
	s_delay_alu instid0(VALU_DEP_1)
	v_add_f16_e64 v128, v47, v38
	v_sub_f16_e32 v118, v47, v38
	v_lshrrev_b32_e32 v38, 16, v72
	s_waitcnt vmcnt(2)
	v_lshrrev_b32_e32 v255, 16, v42
	v_lshrrev_b32_e32 v85, 16, v40
	s_waitcnt vmcnt(1)
	v_lshrrev_b32_e32 v237, 16, v28
	;; [unrolled: 3-line block ×3, first 2 shown]
	v_mul_f16_e64 v47, v38, v255
	v_mul_f16_e32 v107, v45, v85
	v_mul_f16_e64 v129, v48, v85
	v_mul_f16_e64 v132, v44, v237
	;; [unrolled: 1-line block ×3, first 2 shown]
	v_fma_f16 v130, v72, v42, -v47
	v_lshrrev_b32_e32 v47, 16, v44
	v_fma_f16 v125, v48, v40, -v107
	v_mul_f16_e64 v134, v46, v236
	v_fma_f16 v133, v46, v30, -v37
	v_fmac_f16_e64 v129, v45, v40
	v_mul_f16_e64 v48, v47, v237
	v_fmac_f16_e64 v132, v47, v28
	v_mul_f16_e64 v72, v72, v255
	;; [unrolled: 2-line block ×3, first 2 shown]
	v_fma_f16 v131, v44, v28, -v48
	global_load_b128 v[44:47], v[246:247], off offset:1160
	v_fmac_f16_e32 v72, v38, v42
	v_lshrrev_b32_e32 v38, 16, v39
	v_lshrrev_b32_e32 v251, 16, v31
	s_delay_alu instid0(VALU_DEP_2) | instskip(SKIP_1) | instid1(VALU_DEP_2)
	v_mul_f16_e64 v36, v38, v229
	v_fmac_f16_e64 v138, v38, v226
	v_fma_f16 v135, v39, v226, -v36
	v_lshrrev_b32_e32 v39, 16, v98
	s_delay_alu instid0(VALU_DEP_2)
	v_sub_f16_e64 v191, v133, v135
	s_waitcnt vmcnt(0)
	v_lshrrev_b32_e32 v252, 16, v44
	v_lshrrev_b32_e32 v254, 16, v45
	;; [unrolled: 1-line block ×4, first 2 shown]
	s_delay_alu instid0(VALU_DEP_4) | instskip(SKIP_1) | instid1(VALU_DEP_4)
	v_mul_f16_e64 v36, v39, v252
	v_mul_f16_e64 v140, v98, v252
	;; [unrolled: 1-line block ×3, first 2 shown]
	s_delay_alu instid0(VALU_DEP_3) | instskip(SKIP_4) | instid1(VALU_DEP_1)
	v_fma_f16 v139, v98, v44, -v36
	ds_load_2addr_b32 v[36:37], v50 offset0:88 offset1:188
	v_lshrrev_b32_e32 v98, 16, v41
	v_fmac_f16_e64 v140, v39, v44
	v_fmac_f16_e64 v167, v108, v46
	v_add_f16_e64 v10, v140, v167
	s_waitcnt lgkmcnt(0)
	v_lshrrev_b32_e32 v48, 16, v36
	v_mul_f16_e64 v150, v36, v98
	v_lshrrev_b32_e32 v107, 16, v37
	v_mul_f16_e64 v159, v37, v254
	s_delay_alu instid0(VALU_DEP_3) | instskip(SKIP_1) | instid1(VALU_DEP_3)
	v_fmac_f16_e64 v150, v48, v41
	v_mul_f16_e32 v48, v48, v98
	v_fmac_f16_e64 v159, v107, v45
	s_delay_alu instid0(VALU_DEP_2) | instskip(SKIP_1) | instid1(VALU_DEP_1)
	v_fma_f16 v152, v36, v41, -v48
	v_mul_f16_e64 v36, v107, v254
	v_fma_f16 v155, v37, v45, -v36
	v_mul_f16_e64 v36, v108, v253
	s_delay_alu instid0(VALU_DEP_1)
	v_fma_f16 v163, v113, v46, -v36
	ds_load_2addr_b32 v[36:37], v49 offset0:48 offset1:148
	v_lshrrev_b32_e32 v113, 16, v43
	v_add_f16_e64 v202, v139, v163
	s_waitcnt lgkmcnt(0)
	v_lshrrev_b32_e32 v48, 16, v36
	s_delay_alu instid0(VALU_DEP_3) | instskip(SKIP_1) | instid1(VALU_DEP_2)
	v_mul_f16_e64 v168, v36, v113
	v_mul_f16_e64 v171, v37, v105
	v_fmac_f16_e64 v168, v48, v43
	v_mul_f16_e32 v48, v48, v113
	s_delay_alu instid0(VALU_DEP_1) | instskip(SKIP_1) | instid1(VALU_DEP_1)
	v_fma_f16 v169, v36, v43, -v48
	v_lshrrev_b32_e32 v36, 16, v37
	v_mul_f16_e64 v170, v36, v105
	v_fmac_f16_e64 v171, v36, v47
	s_delay_alu instid0(VALU_DEP_2)
	v_fma_f16 v170, v37, v47, -v170
	s_clause 0x1
	global_load_b32 v234, v[246:247], off offset:1192
	global_load_b128 v[36:39], v[246:247], off offset:1176
	v_lshrrev_b32_e32 v247, 16, v29
	s_waitcnt vmcnt(0)
	v_lshrrev_b32_e32 v244, 16, v36
	v_lshrrev_b32_e32 v246, 16, v37
	s_delay_alu instid0(VALU_DEP_2) | instskip(SKIP_1) | instid1(VALU_DEP_2)
	v_mul_f16_e64 v107, v172, v244
	v_mul_f16_e64 v174, v245, v244
	v_fma_f16 v173, v245, v36, -v107
	ds_load_2addr_b32 v[107:108], v144 offset0:8 offset1:108
	v_lshrrev_b32_e32 v245, 16, v38
	v_fmac_f16_e64 v174, v172, v36
	s_delay_alu instid0(VALU_DEP_2) | instskip(NEXT) | instid1(VALU_DEP_2)
	v_mul_f16_e64 v153, v250, v245
	v_add_f16_e64 v10, v10, v174
	s_delay_alu instid0(VALU_DEP_2) | instskip(NEXT) | instid1(VALU_DEP_1)
	v_fmac_f16_e64 v153, v205, v38
	v_sub_f16_e64 v8, v174, v153
	s_delay_alu instid0(VALU_DEP_3)
	v_add_f16_e64 v10, v10, v153
	s_waitcnt lgkmcnt(0)
	v_lshrrev_b32_e32 v175, 16, v107
	v_mul_f16_e64 v176, v107, v247
	v_lshrrev_b32_e32 v177, 16, v108
	v_mul_f16_e64 v199, v108, v246
	s_delay_alu instid0(VALU_DEP_3) | instskip(SKIP_1) | instid1(VALU_DEP_3)
	v_fmac_f16_e64 v176, v175, v29
	v_mul_f16_e64 v175, v175, v247
	v_fmac_f16_e64 v199, v177, v37
	s_delay_alu instid0(VALU_DEP_3) | instskip(NEXT) | instid1(VALU_DEP_3)
	v_sub_f16_e64 v196, v168, v176
	v_fma_f16 v175, v107, v29, -v175
	v_mul_f16_e64 v107, v177, v246
	s_delay_alu instid0(VALU_DEP_2) | instskip(NEXT) | instid1(VALU_DEP_2)
	v_add_f16_e64 v177, v169, v175
	v_fma_f16 v187, v108, v37, -v107
	v_mul_f16_e64 v107, v205, v245
	s_delay_alu instid0(VALU_DEP_1)
	v_fma_f16 v141, v250, v38, -v107
	ds_load_2addr_b32 v[107:108], v136 offset0:96 offset1:196
	v_lshrrev_b32_e32 v250, 16, v39
	v_sub_f16_e64 v9, v173, v141
	s_waitcnt lgkmcnt(0)
	v_lshrrev_b32_e32 v240, 16, v107
	v_mul_f16_e64 v185, v107, v251
	v_mul_f16_e64 v193, v108, v250
	s_delay_alu instid0(VALU_DEP_2) | instskip(SKIP_1) | instid1(VALU_DEP_2)
	v_fmac_f16_e64 v185, v240, v31
	v_mul_f16_e64 v240, v240, v251
	v_sub_f16_e64 v205, v150, v185
	s_delay_alu instid0(VALU_DEP_2) | instskip(SKIP_1) | instid1(VALU_DEP_2)
	v_fma_f16 v142, v107, v31, -v240
	v_lshrrev_b32_e32 v107, 16, v108
	v_add_f16_e64 v178, v152, v142
	s_delay_alu instid0(VALU_DEP_2) | instskip(SKIP_3) | instid1(VALU_DEP_4)
	v_mul_f16_e64 v240, v107, v250
	v_fmac_f16_e64 v193, v107, v39
	v_sub_f16_e64 v107, v152, v169
	v_sub_f16_e64 v180, v175, v142
	v_fma_f16 v192, v108, v39, -v240
	v_lshrrev_b32_e32 v240, 16, v234
	v_lshrrev_b32_e32 v108, 16, v0
	v_sub_f16_e64 v5, v159, v193
	s_delay_alu instid0(VALU_DEP_4) | instskip(NEXT) | instid1(VALU_DEP_4)
	v_sub_f16_e64 v181, v187, v192
	v_mul_f16_e64 v1, v0, v240
	s_delay_alu instid0(VALU_DEP_4) | instskip(NEXT) | instid1(VALU_DEP_2)
	v_mul_f16_e64 v145, v108, v240
	v_fmac_f16_e64 v1, v108, v234
	v_sub_f16_e64 v108, v142, v175
	s_delay_alu instid0(VALU_DEP_3) | instskip(NEXT) | instid1(VALU_DEP_3)
	v_fma_f16 v145, v0, v234, -v145
	v_add_f16_e64 v203, v167, v1
	s_delay_alu instid0(VALU_DEP_3)
	v_add_f16_e64 v172, v107, v108
	ds_load_2addr_b32 v[107:108], v148 offset1:100
	v_add_f16_e64 v201, v163, v145
	v_sub_f16_e64 v184, v141, v145
	v_sub_f16_e64 v188, v153, v1
	;; [unrolled: 1-line block ×4, first 2 shown]
	v_add_f16_e32 v10, v10, v1
	v_sub_f16_e64 v1, v1, v153
	s_waitcnt lgkmcnt(0)
	v_fma_f16 v177, -0.5, v177, v107
	v_fma_f16 v178, -0.5, v178, v107
	v_lshrrev_b32_e32 v146, 16, v108
	v_add_f16_e64 v200, v108, v155
	s_delay_alu instid0(VALU_DEP_4) | instskip(SKIP_3) | instid1(VALU_DEP_4)
	v_fma_f16 v115, 0x3b9c, v205, v177
	v_fmac_f16_e64 v177, 0xbb9c, v205
	v_fma_f16 v197, 0xbb9c, v196, v178
	v_fmac_f16_e64 v178, 0x3b9c, v196
	v_fmac_f16_e64 v115, 0x38b4, v196
	s_delay_alu instid0(VALU_DEP_4)
	v_fmac_f16_e64 v177, 0xb8b4, v196
	v_sub_f16_e64 v196, v169, v152
	v_fmac_f16_e64 v197, 0x38b4, v205
	v_fmac_f16_e64 v178, 0xb8b4, v205
	v_add_f16_e64 v205, v155, v192
	v_fmac_f16_e64 v115, 0x34f2, v172
	v_add_f16_e64 v180, v196, v180
	v_add_f16_e64 v196, v170, v187
	v_fmac_f16_e64 v177, 0x34f2, v172
	v_sub_f16_e64 v172, v185, v176
	s_delay_alu instid0(VALU_DEP_4) | instskip(NEXT) | instid1(VALU_DEP_4)
	v_fmac_f16_e64 v197, 0x34f2, v180
	v_fma_f16 v196, -0.5, v196, v108
	v_fmac_f16_e64 v108, -0.5, v205
	v_sub_f16_e64 v205, v170, v155
	v_fmac_f16_e64 v178, 0x34f2, v180
	s_delay_alu instid0(VALU_DEP_2) | instskip(SKIP_1) | instid1(VALU_DEP_1)
	v_add_f16_e64 v181, v205, v181
	v_add_f16_e64 v205, v173, v141
	v_fma_f16 v205, -0.5, v205, v139
	v_fmac_f16_e64 v139, -0.5, v201
	v_sub_f16_e64 v201, v173, v163
	s_delay_alu instid0(VALU_DEP_2) | instskip(NEXT) | instid1(VALU_DEP_2)
	v_fma_f16 v6, 0xbb9c, v8, v139
	v_add_f16_e64 v184, v201, v184
	v_add_f16_e64 v201, v174, v153
	v_fmac_f16_e64 v139, 0x3b9c, v8
	s_delay_alu instid0(VALU_DEP_4) | instskip(NEXT) | instid1(VALU_DEP_3)
	v_fmac_f16_e32 v6, 0x38b4, v7
	v_fma_f16 v201, -0.5, v201, v140
	v_fmac_f16_e64 v140, -0.5, v203
	v_sub_f16_e64 v203, v174, v167
	v_fmac_f16_e64 v139, 0xb8b4, v7
	v_fmac_f16_e64 v6, 0x34f2, v184
	s_delay_alu instid0(VALU_DEP_4) | instskip(NEXT) | instid1(VALU_DEP_4)
	v_fma_f16 v2, 0x3b9c, v9, v140
	v_add_f16_e64 v188, v203, v188
	v_sub_f16_e64 v203, v171, v199
	v_fmac_f16_e64 v140, 0xbb9c, v9
	v_fmac_f16_e64 v139, 0x34f2, v184
	v_fmac_f16_e32 v2, 0xb8b4, v4
	s_delay_alu instid0(VALU_DEP_4)
	v_fma_f16 v3, 0xbb9c, v203, v108
	v_fmac_f16_e64 v108, 0x3b9c, v203
	v_fmac_f16_e64 v140, 0x38b4, v4
	v_mul_f16_e64 v0, 0xb4f2, v139
	v_fmac_f16_e64 v2, 0x34f2, v188
	v_fmac_f16_e32 v3, 0x38b4, v5
	v_fmac_f16_e32 v108, 0xb8b4, v5
	v_fmac_f16_e64 v140, 0x34f2, v188
	s_delay_alu instid0(VALU_DEP_3) | instskip(NEXT) | instid1(VALU_DEP_3)
	v_fmac_f16_e64 v3, 0x34f2, v181
	v_fmac_f16_e64 v108, 0x34f2, v181
	s_delay_alu instid0(VALU_DEP_3) | instskip(NEXT) | instid1(VALU_DEP_1)
	v_fmac_f16_e64 v0, 0x3b9c, v140
	v_add_f16_e32 v48, v108, v0
	v_sub_f16_e32 v49, v108, v0
	v_lshrrev_b32_e32 v108, 16, v107
	v_add_f16_e64 v107, v107, v152
	v_sub_f16_e64 v0, v132, v134
	s_delay_alu instid0(VALU_DEP_3) | instskip(NEXT) | instid1(VALU_DEP_3)
	v_add_f16_e64 v180, v108, v150
	v_add_f16_e64 v107, v107, v169
	s_delay_alu instid0(VALU_DEP_1) | instskip(NEXT) | instid1(VALU_DEP_1)
	v_add_f16_e64 v107, v107, v175
	v_add_f16_e64 v107, v107, v142
	v_sub_f16_e64 v142, v152, v142
	v_sub_f16_e64 v152, v169, v175
	;; [unrolled: 1-line block ×3, first 2 shown]
	v_add_f16_e64 v175, v150, v185
	v_sub_f16_e64 v150, v168, v150
	s_delay_alu instid0(VALU_DEP_3) | instskip(SKIP_1) | instid1(VALU_DEP_1)
	v_add_f16_e64 v169, v169, v172
	v_add_f16_e64 v172, v168, v176
	v_fma_f16 v172, -0.5, v172, v108
	v_fmac_f16_e64 v108, -0.5, v175
	v_add_f16_e64 v175, v180, v168
	s_delay_alu instid0(VALU_DEP_2) | instskip(NEXT) | instid1(VALU_DEP_2)
	v_fma_f16 v180, 0x3b9c, v152, v108
	v_add_f16_e64 v168, v175, v176
	v_sub_f16_e64 v175, v176, v185
	v_fma_f16 v176, 0xbb9c, v142, v172
	v_fmac_f16_e64 v172, 0x3b9c, v142
	v_fmac_f16_e64 v108, 0xbb9c, v152
	;; [unrolled: 1-line block ×3, first 2 shown]
	v_add_f16_e64 v150, v150, v175
	v_fmac_f16_e64 v176, 0xb8b4, v152
	v_fmac_f16_e64 v172, 0x38b4, v152
	;; [unrolled: 1-line block ×3, first 2 shown]
	v_sub_f16_e64 v142, v130, v131
	v_sub_f16_e64 v152, v135, v133
	v_fmac_f16_e64 v176, 0x34f2, v169
	v_fmac_f16_e64 v172, 0x34f2, v169
	v_add_f16_e64 v169, v130, v135
	v_add_f16_e64 v175, v125, v130
	;; [unrolled: 1-line block ×5, first 2 shown]
	v_fmac_f16_e64 v180, 0x34f2, v150
	v_fmac_f16_e64 v108, 0x34f2, v150
	v_add_f16_e64 v150, v129, v72
	v_fma_f16 v152, -0.5, v152, v125
	v_fmac_f16_e64 v125, -0.5, v169
	v_sub_f16_e64 v169, v72, v138
	s_delay_alu instid0(VALU_DEP_2) | instskip(NEXT) | instid1(VALU_DEP_2)
	v_fmamk_f16 v50, v0, 0xbb9c, v125
	v_fma_f16 v185, 0x3b9c, v169, v152
	v_fmac_f16_e64 v152, 0xbb9c, v169
	v_fmac_f16_e32 v125, 0x3b9c, v0
	s_delay_alu instid0(VALU_DEP_4) | instskip(NEXT) | instid1(VALU_DEP_4)
	v_fmac_f16_e64 v50, 0x38b4, v169
	v_fmac_f16_e64 v185, 0x38b4, v0
	s_delay_alu instid0(VALU_DEP_4)
	v_fmac_f16_e64 v152, 0xb8b4, v0
	v_sub_f16_e64 v0, v131, v130
	v_fmac_f16_e64 v125, 0xb8b4, v169
	v_sub_f16_e64 v130, v130, v135
	v_fmac_f16_e64 v185, 0x34f2, v142
	v_fmac_f16_e64 v152, 0x34f2, v142
	v_add_f16_e64 v0, v0, v191
	v_add_f16_e64 v142, v72, v138
	s_delay_alu instid0(VALU_DEP_2) | instskip(SKIP_3) | instid1(VALU_DEP_2)
	v_fmac_f16_e32 v50, 0x34f2, v0
	v_fmac_f16_e32 v125, 0x34f2, v0
	v_add_f16_e64 v0, v175, v131
	v_sub_f16_e64 v131, v131, v133
	v_add_f16_e64 v0, v0, v133
	v_sub_f16_e64 v133, v72, v132
	v_sub_f16_e64 v72, v132, v72
	s_delay_alu instid0(VALU_DEP_3) | instskip(SKIP_1) | instid1(VALU_DEP_1)
	v_add_f16_e64 v0, v0, v135
	v_sub_f16_e64 v135, v138, v134
	v_add_f16_e64 v133, v133, v135
	v_add_f16_e64 v135, v132, v134
	s_delay_alu instid0(VALU_DEP_1) | instskip(SKIP_2) | instid1(VALU_DEP_1)
	v_fma_f16 v135, -0.5, v135, v129
	v_fmac_f16_e64 v129, -0.5, v142
	v_add_f16_e64 v142, v150, v132
	v_add_f16_e64 v132, v142, v134
	v_sub_f16_e64 v134, v134, v138
	s_delay_alu instid0(VALU_DEP_4) | instskip(SKIP_1) | instid1(VALU_DEP_4)
	v_fma_f16 v142, 0x3b9c, v131, v129
	v_fmac_f16_e64 v129, 0xbb9c, v131
	v_add_f16_e64 v132, v132, v138
	v_fma_f16 v138, 0xbb9c, v130, v135
	v_fmac_f16_e64 v135, 0x3b9c, v130
	v_add_f16_e64 v72, v72, v134
	v_fmac_f16_e64 v142, 0xb8b4, v130
	v_fmac_f16_e64 v129, 0x38b4, v130
	;; [unrolled: 1-line block ×4, first 2 shown]
	v_mul_f16_e64 v130, 0xb8b4, v185
	v_fmac_f16_e64 v142, 0x34f2, v72
	v_fmac_f16_e64 v129, 0x34f2, v72
	;; [unrolled: 1-line block ×4, first 2 shown]
	v_mul_f16_e64 v133, 0xb4f2, v125
	v_mul_f16_e64 v131, 0x3b9c, v142
	v_add_f16_e64 v150, v168, v132
	v_mul_f16_e64 v72, 0x38b4, v138
	v_fmac_f16_e64 v130, 0x3a79, v138
	v_fmac_f16_e64 v133, 0x3b9c, v129
	;; [unrolled: 1-line block ×3, first 2 shown]
	v_mul_f16_e32 v50, 0xbb9c, v50
	v_mul_f16_e64 v129, 0xb4f2, v129
	v_fmac_f16_e64 v72, 0x3a79, v185
	v_mul_f16_e64 v134, 0xba79, v135
	v_sub_f16_e64 v132, v168, v132
	v_fmac_f16_e64 v50, 0x34f2, v142
	v_fmac_f16_e64 v129, 0xbb9c, v125
	v_mul_f16_e64 v125, 0xba79, v152
	v_fmac_f16_e64 v134, 0xb8b4, v152
	v_add_f16_e64 v152, v176, v130
	v_add_f16_e64 v168, v180, v50
	v_sub_f16_e64 v50, v180, v50
	v_fmac_f16_e64 v125, 0x38b4, v135
	v_add_f16_e64 v135, v107, v0
	v_sub_f16_e32 v0, v107, v0
	v_add_f16_e32 v107, v115, v72
	v_sub_f16_e32 v72, v115, v72
	v_add_f16_e64 v115, v197, v131
	v_sub_f16_e64 v131, v197, v131
	v_sub_f16_e64 v130, v176, v130
	v_pack_b32_f16 v0, v0, v132
	v_add_f16_e64 v132, v202, v173
	v_add_f16_e64 v138, v178, v133
	v_pack_b32_f16 v50, v131, v50
	v_add_f16_e64 v131, v146, v159
	v_pack_b32_f16 v72, v72, v130
	v_add_f16_e64 v130, v200, v170
	v_add_f16_e64 v132, v132, v141
	v_sub_f16_e64 v133, v178, v133
	v_add_f16_e64 v131, v131, v171
	v_add_f16_e64 v142, v177, v125
	;; [unrolled: 1-line block ×3, first 2 shown]
	v_sub_f16_e64 v125, v177, v125
	v_add_f16_e64 v169, v108, v129
	v_add_f16_e64 v131, v131, v199
	v_sub_f16_e64 v108, v108, v129
	v_add_f16_e64 v129, v172, v134
	v_sub_f16_e64 v134, v172, v134
	v_add_f16_e64 v130, v130, v192
	v_add_f16_e64 v131, v131, v193
	v_add_f16_e64 v132, v132, v145
	v_pack_b32_f16 v107, v107, v152
	v_pack_b32_f16 v108, v133, v108
	;; [unrolled: 1-line block ×3, first 2 shown]
	v_add_f16_e64 v134, v131, v10
	v_add_f16_e64 v133, v130, v132
	v_pack_b32_f16 v115, v115, v168
	v_pack_b32_f16 v138, v138, v169
	;; [unrolled: 1-line block ×5, first 2 shown]
	ds_store_b32 v148, v107 offset:1200
	ds_store_b32 v148, v115 offset:2400
	ds_store_b32 v148, v138 offset:3600
	ds_store_b32 v148, v129 offset:4800
	ds_store_b32 v148, v0 offset:6000
	ds_store_b32 v148, v72 offset:7200
	ds_store_b32 v148, v50 offset:8400
	ds_store_b32 v148, v108 offset:9600
	ds_store_b32 v148, v125 offset:10800
	ds_store_2addr_b32 v148, v135, v133 offset1:100
	v_sub_f16_e64 v107, v163, v173
	v_sub_f16_e64 v108, v145, v141
	;; [unrolled: 1-line block ×6, first 2 shown]
	v_add_f16_e32 v107, v107, v108
	v_fma_f16 v108, 0xbb9c, v4, v201
	v_add_f16_e32 v1, v115, v1
	v_fma_f16 v115, 0x3b9c, v7, v205
	v_add_f16_e64 v125, v125, v129
	v_sub_f16_e64 v134, v77, v76
	v_fmac_f16_e32 v108, 0xb8b4, v9
	v_fma_f16 v135, 0x3b9c, v114, v94
	v_fmac_f16_e32 v115, 0x38b4, v8
	v_sub_f16_e64 v0, v155, v170
	v_sub_f16_e64 v50, v192, v187
	v_fmac_f16_e32 v108, 0x34f2, v1
	v_fmac_f16_e64 v135, 0x38b4, v124
	v_fmac_f16_e32 v115, 0x34f2, v107
	v_sub_f16_e64 v72, v170, v187
	v_add_f16_e32 v0, v0, v50
	v_mul_f16_e64 v129, 0x38b4, v108
	v_sub_f16_e64 v50, v155, v192
	v_fma_f16 v141, 0x3b9c, v5, v196
	v_fma_f16 v152, 0x3b9c, v11, v82
	v_sub_f16_e64 v155, v78, v79
	v_fmac_f16_e64 v129, 0x3a79, v115
	v_mul_f16_e32 v115, 0xb8b4, v115
	v_fmac_f16_e64 v141, 0x38b4, v203
	v_fmac_f16_e64 v152, 0x38b4, v102
	v_fmac_f16_e64 v205, 0xbb9c, v7
	v_fmac_f16_e64 v201, 0x3b9c, v4
	v_fmac_f16_e32 v115, 0x3a79, v108
	v_sub_f16_e32 v108, v81, v78
	v_fmac_f16_e64 v141, 0x34f2, v0
	v_sub_f16_e32 v81, v81, v71
	v_fmac_f16_e64 v196, 0xbb9c, v5
	v_fmac_f16_e64 v205, 0xb8b4, v8
	v_add_f16_e64 v108, v108, v133
	v_sub_f16_e64 v133, v80, v75
	v_add_f16_e64 v145, v141, v129
	v_fmac_f16_e32 v94, 0xbb9c, v114
	v_fmac_f16_e64 v201, 0x38b4, v9
	v_fmac_f16_e64 v152, 0x34f2, v108
	v_add_f16_e64 v133, v133, v134
	v_sub_f16_e64 v134, v89, v90
	v_fmac_f16_e64 v196, 0xb8b4, v203
	v_fmac_f16_e64 v205, 0x34f2, v107
	v_fmac_f16_e32 v94, 0xb8b4, v124
	v_fmac_f16_e64 v201, 0x34f2, v1
	v_add_f16_e64 v103, v103, v134
	v_sub_f16_e64 v134, v87, v86
	v_fmac_f16_e64 v196, 0x34f2, v0
	v_fmac_f16_e32 v82, 0xbb9c, v11
	v_mul_f16_e64 v0, 0xba79, v205
	v_fmac_f16_e64 v135, 0x34f2, v103
	v_add_f16_e64 v101, v101, v134
	v_fma_f16 v134, 0xbb9c, v117, v99
	v_fmac_f16_e32 v99, 0x3b9c, v117
	v_fmac_f16_e32 v94, 0x34f2, v103
	v_mul_f16_e64 v1, 0xba79, v201
	v_fmac_f16_e32 v82, 0xb8b4, v102
	v_fmac_f16_e64 v134, 0xb8b4, v104
	v_fmac_f16_e32 v99, 0x38b4, v104
	v_fmac_f16_e64 v0, 0x38b4, v201
	v_fmac_f16_e64 v1, 0xb8b4, v205
	v_mul_f16_e32 v4, 0xba79, v94
	v_fmac_f16_e64 v134, 0x34f2, v101
	v_fmac_f16_e32 v99, 0x34f2, v101
	v_fmac_f16_e32 v82, 0x34f2, v108
	v_add_f16_e64 v7, v196, v0
	v_add_f16_e32 v11, v100, v83
	v_mul_f16_e64 v138, 0x38b4, v134
	v_mul_f16_e32 v5, 0xba79, v99
	v_fmac_f16_e32 v4, 0x38b4, v99
	v_sub_f16_e64 v10, v131, v10
	v_add_f16_e32 v11, v11, v86
	v_fmac_f16_e64 v138, 0x3a79, v135
	v_mul_f16_e64 v135, 0xb8b4, v135
	v_fmac_f16_e32 v5, 0xb8b4, v94
	v_sub_f16_e64 v0, v196, v0
	v_add_f16_e32 v11, v11, v87
	v_add_f16_e64 v163, v152, v138
	v_fmac_f16_e64 v135, 0x3a79, v134
	v_add_f16_e64 v134, v171, v199
	s_delay_alu instid0(VALU_DEP_1) | instskip(NEXT) | instid1(VALU_DEP_1)
	v_fma_f16 v134, -0.5, v134, v146
	v_fma_f16 v142, 0xbb9c, v50, v134
	v_fmac_f16_e64 v134, 0x3b9c, v50
	s_delay_alu instid0(VALU_DEP_2) | instskip(NEXT) | instid1(VALU_DEP_2)
	v_fmac_f16_e64 v142, 0xb8b4, v72
	v_fmac_f16_e64 v134, 0x38b4, v72
	s_delay_alu instid0(VALU_DEP_2) | instskip(NEXT) | instid1(VALU_DEP_2)
	v_fmac_f16_e64 v142, 0x34f2, v125
	v_fmac_f16_e64 v134, 0x34f2, v125
	v_add_nc_u32_e32 v125, 0x2600, v148
	s_delay_alu instid0(VALU_DEP_3) | instskip(NEXT) | instid1(VALU_DEP_3)
	v_add_f16_e64 v150, v142, v115
	v_add_f16_e64 v8, v134, v1
	v_sub_f16_e64 v1, v134, v1
	s_delay_alu instid0(VALU_DEP_3) | instskip(SKIP_1) | instid1(VALU_DEP_4)
	v_pack_b32_f16 v145, v145, v150
	v_add_f16_e64 v150, v75, v76
	v_pack_b32_f16 v7, v7, v8
	v_add_f16_e32 v8, v82, v4
	v_pack_b32_f16 v0, v0, v1
	s_delay_alu instid0(VALU_DEP_4) | instskip(NEXT) | instid1(VALU_DEP_1)
	v_fma_f16 v150, -0.5, v150, v121
	v_fma_f16 v153, 0xbb9c, v81, v150
	v_fmac_f16_e64 v150, 0x3b9c, v81
	s_delay_alu instid0(VALU_DEP_2) | instskip(NEXT) | instid1(VALU_DEP_2)
	v_fmac_f16_e64 v153, 0xb8b4, v155
	v_fmac_f16_e64 v150, 0x38b4, v155
	s_delay_alu instid0(VALU_DEP_2) | instskip(NEXT) | instid1(VALU_DEP_2)
	v_fmac_f16_e64 v153, 0x34f2, v133
	v_fmac_f16_e64 v150, 0x34f2, v133
	s_delay_alu instid0(VALU_DEP_2) | instskip(NEXT) | instid1(VALU_DEP_2)
	v_add_f16_e64 v167, v153, v135
	v_add_f16_e64 v9, v150, v5
	s_delay_alu instid0(VALU_DEP_2) | instskip(NEXT) | instid1(VALU_DEP_2)
	v_pack_b32_f16 v163, v163, v167
	v_pack_b32_f16 v8, v8, v9
	v_add_f16_e32 v9, v95, v88
	ds_store_2addr_b32 v127, v145, v163 offset0:144 offset1:244
	v_sub_f16_e64 v145, v171, v159
	v_add_f16_e64 v159, v159, v193
	v_sub_f16_e64 v163, v199, v193
	ds_store_2addr_b32 v149, v7, v8 offset0:20 offset1:120
	v_add_f16_e64 v7, v158, v78
	v_add_f16_e32 v8, v93, v75
	v_fmac_f16_e64 v146, -0.5, v159
	v_mul_f16_e64 v159, 0x3b9c, v2
	v_add_f16_e64 v145, v145, v163
	v_add_f16_e32 v7, v7, v79
	v_add_f16_e32 v8, v8, v76
	;; [unrolled: 1-line block ×3, first 2 shown]
	v_fmac_f16_e64 v159, 0x34f2, v6
	v_mul_f16_e32 v6, 0xbb9c, v6
	v_add_f16_e32 v7, v7, v71
	v_add_f16_e32 v8, v8, v77
	;; [unrolled: 1-line block ×3, first 2 shown]
	v_sub_f16_e64 v71, v153, v135
	v_fmac_f16_e32 v6, 0x34f2, v2
	v_add_f16_e32 v2, v80, v77
	s_delay_alu instid0(VALU_DEP_1) | instskip(SKIP_2) | instid1(VALU_DEP_1)
	v_fmac_f16_e32 v121, -0.5, v2
	v_sub_f16_e32 v2, v75, v80
	v_sub_f16_e32 v80, v76, v77
	v_add_f16_e32 v2, v2, v80
	v_mul_f16_e32 v80, 0x3b9c, v123
	v_add_f16_e64 v123, v3, v159
	v_sub_f16_e64 v3, v3, v159
	s_delay_alu instid0(VALU_DEP_3) | instskip(SKIP_2) | instid1(VALU_DEP_3)
	v_fmac_f16_e32 v80, 0x34f2, v122
	v_fma_f16 v122, 0x3b9c, v72, v146
	v_fmac_f16_e64 v146, 0xbb9c, v72
	v_add_f16_e64 v163, v96, v80
	s_delay_alu instid0(VALU_DEP_3) | instskip(NEXT) | instid1(VALU_DEP_3)
	v_fmac_f16_e32 v122, 0xb8b4, v50
	v_fmac_f16_e64 v146, 0x38b4, v50
	v_sub_f16_e32 v50, v8, v11
	s_delay_alu instid0(VALU_DEP_3) | instskip(NEXT) | instid1(VALU_DEP_3)
	v_fmac_f16_e64 v122, 0x34f2, v145
	v_fmac_f16_e64 v146, 0x34f2, v145
	s_delay_alu instid0(VALU_DEP_2) | instskip(SKIP_1) | instid1(VALU_DEP_2)
	v_add_f16_e64 v137, v122, v6
	v_sub_f16_e32 v6, v122, v6
	v_pack_b32_f16 v123, v123, v137
	v_fma_f16 v137, 0x3b9c, v155, v121
	v_fmac_f16_e64 v121, 0xbb9c, v155
	s_delay_alu instid0(VALU_DEP_4) | instskip(NEXT) | instid1(VALU_DEP_3)
	v_pack_b32_f16 v3, v3, v6
	v_fmac_f16_e64 v137, 0xb8b4, v81
	s_delay_alu instid0(VALU_DEP_3) | instskip(NEXT) | instid1(VALU_DEP_2)
	v_fmac_f16_e32 v121, 0x38b4, v81
	v_fmac_f16_e64 v137, 0x34f2, v2
	s_delay_alu instid0(VALU_DEP_2) | instskip(SKIP_1) | instid1(VALU_DEP_3)
	v_fmac_f16_e32 v121, 0x34f2, v2
	v_mul_f16_e32 v2, 0xb4f2, v91
	v_add_f16_e64 v167, v137, v111
	s_delay_alu instid0(VALU_DEP_2) | instskip(NEXT) | instid1(VALU_DEP_2)
	v_fmac_f16_e32 v2, 0xbb9c, v92
	v_pack_b32_f16 v163, v163, v167
	v_add_nc_u32_e32 v167, 0xa00, v148
	ds_store_2addr_b32 v167, v123, v163 offset0:60 offset1:160
	v_mul_f16_e64 v123, 0xb4f2, v140
	s_delay_alu instid0(VALU_DEP_1) | instskip(NEXT) | instid1(VALU_DEP_1)
	v_fmac_f16_e64 v123, 0xbb9c, v139
	v_add_f16_e64 v91, v146, v123
	s_delay_alu instid0(VALU_DEP_1) | instskip(SKIP_2) | instid1(VALU_DEP_2)
	v_pack_b32_f16 v48, v48, v91
	v_add_f16_e32 v91, v121, v2
	v_sub_f16_e32 v2, v121, v2
	v_pack_b32_f16 v91, v128, v91
	s_delay_alu instid0(VALU_DEP_2) | instskip(SKIP_3) | instid1(VALU_DEP_1)
	v_pack_b32_f16 v2, v118, v2
	v_mov_b32_e32 v128, v62
	ds_store_2addr_b32 v186, v48, v91 offset0:104 offset1:204
	v_sub_f16_e64 v48, v130, v132
	v_pack_b32_f16 v10, v48, v10
	v_sub_f16_e32 v48, v7, v9
	s_delay_alu instid0(VALU_DEP_1) | instskip(SKIP_4) | instid1(VALU_DEP_1)
	v_pack_b32_f16 v48, v48, v50
	v_sub_f16_e64 v50, v152, v138
	ds_store_2addr_b32 v84, v10, v48 offset0:64 offset1:164
	v_sub_f16_e64 v10, v141, v129
	v_sub_f16_e64 v48, v142, v115
	v_pack_b32_f16 v10, v10, v48
	v_pack_b32_f16 v48, v50, v71
	ds_store_2addr_b32 v144, v10, v48 offset0:108 offset1:208
	v_sub_f16_e32 v10, v96, v80
	v_sub_f16_e64 v48, v137, v111
	s_delay_alu instid0(VALU_DEP_1) | instskip(SKIP_2) | instid1(VALU_DEP_1)
	v_pack_b32_f16 v6, v10, v48
	ds_store_2addr_b32 v183, v3, v6 offset0:152 offset1:252
	v_sub_f16_e64 v3, v146, v123
	v_pack_b32_f16 v3, v49, v3
	ds_store_2addr_b32 v125, v3, v2 offset0:68 offset1:168
	v_sub_f16_e32 v2, v82, v4
	v_sub_f16_e64 v3, v150, v5
	s_delay_alu instid0(VALU_DEP_1) | instskip(SKIP_3) | instid1(VALU_DEP_1)
	v_pack_b32_f16 v1, v2, v3
	ds_store_2addr_b32 v97, v0, v1 offset0:112 offset1:212
	v_add_f16_e32 v0, v7, v9
	v_add_f16_e32 v1, v8, v11
	v_pack_b32_f16 v0, v0, v1
	ds_store_b32 v148, v0 offset:800
	s_waitcnt lgkmcnt(0)
	s_barrier
	buffer_gl0_inv
	global_load_b32 v49, v[60:61], off offset:3808
	v_add_co_u32 v0, vcc_lo, 0x2ee0, v73
	v_add_co_ci_u32_e32 v1, vcc_lo, 0, v74, vcc_lo
	s_clause 0x1
	global_load_b32 v2, v[0:1], off offset:400
	global_load_b32 v3, v[0:1], off offset:800
	ds_load_2addr_b32 v[71:72], v148 offset1:100
	s_waitcnt lgkmcnt(0)
	v_lshrrev_b32_e32 v5, 16, v71
	s_waitcnt vmcnt(2)
	v_lshrrev_b32_e32 v4, 16, v49
	s_delay_alu instid0(VALU_DEP_1) | instskip(NEXT) | instid1(VALU_DEP_3)
	v_mul_f16_e32 v6, v71, v4
	v_mul_f16_e32 v4, v5, v4
	s_delay_alu instid0(VALU_DEP_2) | instskip(NEXT) | instid1(VALU_DEP_2)
	v_fmac_f16_e32 v6, v5, v49
	v_fma_f16 v4, v71, v49, -v4
	v_add_co_u32 v49, vcc_lo, 0x4000, v73
	v_add_co_ci_u32_e32 v50, vcc_lo, 0, v74, vcc_lo
	s_delay_alu instid0(VALU_DEP_3)
	v_pack_b32_f16 v4, v4, v6
	v_add_co_u32 v73, vcc_lo, 0x5000, v73
	v_add_co_ci_u32_e32 v74, vcc_lo, 0, v74, vcc_lo
	ds_store_b32 v148, v4
	s_clause 0x1
	global_load_b32 v4, v[49:50], off offset:1616
	global_load_b32 v5, v[49:50], off offset:1216
	ds_load_2addr_b32 v[75:76], v149 offset0:120 offset1:220
	s_waitcnt lgkmcnt(0)
	v_lshrrev_b32_e32 v7, 16, v76
	s_waitcnt vmcnt(1)
	v_lshrrev_b32_e32 v6, 16, v4
	s_delay_alu instid0(VALU_DEP_1) | instskip(NEXT) | instid1(VALU_DEP_3)
	v_mul_f16_e32 v8, v76, v6
	v_mul_f16_e32 v6, v7, v6
	s_delay_alu instid0(VALU_DEP_2) | instskip(NEXT) | instid1(VALU_DEP_2)
	v_fmac_f16_e32 v8, v7, v4
	v_fma_f16 v4, v76, v4, -v6
	s_clause 0x4
	global_load_b32 v6, v[49:50], off offset:2016
	global_load_b32 v7, v[49:50], off offset:2416
	;; [unrolled: 1-line block ×5, first 2 shown]
	ds_load_2addr_b32 v[76:77], v84 offset0:64 offset1:164
	v_pack_b32_f16 v4, v4, v8
	v_add_nc_u32_e32 v8, 0x1600, v148
	s_waitcnt lgkmcnt(0)
	v_lshrrev_b32_e32 v60, 16, v76
	s_waitcnt vmcnt(4)
	v_lshrrev_b32_e32 v48, 16, v6
	s_delay_alu instid0(VALU_DEP_1) | instskip(NEXT) | instid1(VALU_DEP_3)
	v_mul_f16_e32 v61, v76, v48
	v_mul_f16_e32 v48, v60, v48
	s_delay_alu instid0(VALU_DEP_2) | instskip(NEXT) | instid1(VALU_DEP_2)
	v_fmac_f16_e32 v61, v60, v6
	v_fma_f16 v6, v76, v6, -v48
	s_delay_alu instid0(VALU_DEP_1)
	v_pack_b32_f16 v6, v6, v61
	ds_store_2addr_b32 v8, v4, v6 offset0:92 offset1:192
	s_clause 0x2
	global_load_b32 v4, v[0:1], off offset:2400
	global_load_b32 v6, v[0:1], off offset:2800
	;; [unrolled: 1-line block ×3, first 2 shown]
	ds_load_2addr_b32 v[78:79], v62 offset0:88 offset1:188
	ds_load_2addr_b32 v[80:81], v127 offset0:144 offset1:244
	s_waitcnt lgkmcnt(1)
	v_lshrrev_b32_e32 v60, 16, v78
	s_waitcnt lgkmcnt(0)
	v_lshrrev_b32_e32 v71, 16, v81
	s_waitcnt vmcnt(2)
	v_lshrrev_b32_e32 v48, 16, v4
	s_delay_alu instid0(VALU_DEP_1) | instskip(SKIP_1) | instid1(VALU_DEP_2)
	v_mul_f16_e32 v61, v78, v48
	v_mul_f16_e32 v48, v60, v48
	v_fmac_f16_e32 v61, v60, v4
	s_waitcnt vmcnt(0)
	v_lshrrev_b32_e32 v60, 16, v8
	s_delay_alu instid0(VALU_DEP_3) | instskip(SKIP_4) | instid1(VALU_DEP_3)
	v_fma_f16 v4, v78, v4, -v48
	global_load_b32 v48, v[0:1], off offset:1600
	v_mul_f16_e32 v76, v81, v60
	v_mul_f16_e32 v60, v71, v60
	v_pack_b32_f16 v4, v4, v61
	v_fmac_f16_e32 v76, v71, v8
	s_delay_alu instid0(VALU_DEP_3) | instskip(SKIP_1) | instid1(VALU_DEP_2)
	v_fma_f16 v8, v81, v8, -v60
	v_add_nc_u32_e32 v60, 0x600, v148
	v_pack_b32_f16 v8, v8, v76
	ds_store_2addr_b32 v60, v8, v4 offset0:116 offset1:216
	s_clause 0x2
	global_load_b32 v4, v[49:50], off offset:416
	global_load_b32 v8, v[49:50], off offset:816
	;; [unrolled: 1-line block ×3, first 2 shown]
	ds_load_2addr_b32 v[81:82], v59 offset0:48 offset1:148
	ds_load_2addr_b32 v[86:87], v186 offset0:104 offset1:204
	s_waitcnt lgkmcnt(1)
	v_lshrrev_b32_e32 v71, 16, v81
	s_waitcnt lgkmcnt(0)
	v_lshrrev_b32_e32 v78, 16, v87
	s_waitcnt vmcnt(2)
	v_lshrrev_b32_e32 v61, 16, v4
	s_delay_alu instid0(VALU_DEP_1) | instskip(SKIP_1) | instid1(VALU_DEP_2)
	v_mul_f16_e32 v76, v81, v61
	v_mul_f16_e32 v61, v71, v61
	v_fmac_f16_e32 v76, v71, v4
	s_waitcnt vmcnt(0)
	v_lshrrev_b32_e32 v71, 16, v60
	s_delay_alu instid0(VALU_DEP_3) | instskip(SKIP_4) | instid1(VALU_DEP_3)
	v_fma_f16 v4, v81, v4, -v61
	global_load_b32 v61, v[0:1], off offset:4000
	v_mul_f16_e32 v81, v87, v71
	v_mul_f16_e32 v71, v78, v71
	v_pack_b32_f16 v4, v4, v76
	v_fmac_f16_e32 v81, v78, v60
	s_delay_alu instid0(VALU_DEP_3) | instskip(SKIP_1) | instid1(VALU_DEP_2)
	v_fma_f16 v60, v87, v60, -v71
	v_add_nc_u32_e32 v71, 0x1000, v148
	v_pack_b32_f16 v60, v60, v81
	ds_store_2addr_b32 v71, v60, v4 offset0:76 offset1:176
	v_lshrrev_b32_e32 v4, 16, v77
	v_lshrrev_b32_e32 v60, 16, v7
	s_delay_alu instid0(VALU_DEP_1) | instskip(SKIP_1) | instid1(VALU_DEP_2)
	v_mul_f16_e32 v71, v4, v60
	v_mul_f16_e32 v60, v77, v60
	v_fma_f16 v71, v77, v7, -v71
	ds_load_2addr_b32 v[76:77], v144 offset0:8 offset1:108
	v_fmac_f16_e32 v60, v4, v7
	v_lshrrev_b32_e32 v4, 16, v9
	s_waitcnt lgkmcnt(0)
	v_lshrrev_b32_e32 v7, 16, v76
	s_delay_alu instid0(VALU_DEP_2) | instskip(NEXT) | instid1(VALU_DEP_2)
	v_mul_f16_e32 v78, v76, v4
	v_mul_f16_e32 v4, v7, v4
	s_delay_alu instid0(VALU_DEP_2) | instskip(SKIP_1) | instid1(VALU_DEP_3)
	v_fmac_f16_e32 v78, v7, v9
	v_pack_b32_f16 v7, v71, v60
	v_fma_f16 v4, v76, v9, -v4
	v_add_nc_u32_e32 v9, 0x1a00, v148
	s_delay_alu instid0(VALU_DEP_2)
	v_pack_b32_f16 v4, v4, v78
	ds_store_2addr_b32 v9, v7, v4 offset0:36 offset1:136
	s_clause 0x4
	global_load_b32 v4, v[73:74], off offset:1120
	global_load_b32 v7, v[73:74], off offset:1520
	;; [unrolled: 1-line block ×5, first 2 shown]
	ds_load_2addr_b32 v[87:88], v136 offset0:96 offset1:196
	s_waitcnt lgkmcnt(0)
	v_lshrrev_b32_e32 v78, 16, v87
	s_waitcnt vmcnt(4)
	v_lshrrev_b32_e32 v71, 16, v4
	s_delay_alu instid0(VALU_DEP_1) | instskip(NEXT) | instid1(VALU_DEP_3)
	v_mul_f16_e32 v81, v87, v71
	v_mul_f16_e32 v71, v78, v71
	s_delay_alu instid0(VALU_DEP_2) | instskip(NEXT) | instid1(VALU_DEP_2)
	v_fmac_f16_e32 v81, v78, v4
	v_fma_f16 v4, v87, v4, -v71
	s_clause 0x1
	global_load_b32 v71, v[73:74], off offset:720
	global_load_b32 v78, v[73:74], off offset:320
	ds_load_2addr_b32 v[89:90], v183 offset0:152 offset1:252
	v_pack_b32_f16 v4, v4, v81
	v_add_nc_u32_e32 v81, 0x2200, v148
	s_waitcnt lgkmcnt(0)
	v_lshrrev_b32_e32 v87, 16, v90
	s_waitcnt vmcnt(1)
	v_lshrrev_b32_e32 v83, 16, v71
	s_delay_alu instid0(VALU_DEP_1) | instskip(NEXT) | instid1(VALU_DEP_3)
	v_mul_f16_e32 v91, v90, v83
	v_mul_f16_e32 v83, v87, v83
	s_delay_alu instid0(VALU_DEP_2) | instskip(NEXT) | instid1(VALU_DEP_2)
	v_fmac_f16_e32 v91, v87, v71
	v_fma_f16 v71, v90, v71, -v83
	s_delay_alu instid0(VALU_DEP_1) | instskip(SKIP_3) | instid1(VALU_DEP_1)
	v_pack_b32_f16 v71, v71, v91
	ds_store_2addr_b32 v81, v71, v4 offset0:124 offset1:224
	v_lshrrev_b32_e32 v4, 16, v72
	v_lshrrev_b32_e32 v71, 16, v2
	v_mul_f16_e32 v81, v4, v71
	v_mul_f16_e32 v83, v72, v71
	v_lshrrev_b32_e32 v71, 16, v48
	s_delay_alu instid0(VALU_DEP_3) | instskip(NEXT) | instid1(VALU_DEP_3)
	v_fma_f16 v81, v72, v2, -v81
	v_fmac_f16_e32 v83, v4, v2
	global_load_b32 v2, v[0:1], off offset:1200
	v_lshrrev_b32_e32 v4, 16, v80
	v_mul_f16_e32 v87, v80, v71
	s_delay_alu instid0(VALU_DEP_2) | instskip(NEXT) | instid1(VALU_DEP_2)
	v_mul_f16_e32 v72, v4, v71
	v_fmac_f16_e32 v87, v4, v48
	s_delay_alu instid0(VALU_DEP_2)
	v_fma_f16 v80, v80, v48, -v72
	ds_load_2addr_b32 v[71:72], v160 offset0:72 offset1:172
	s_waitcnt lgkmcnt(0)
	v_lshrrev_b32_e32 v48, 16, v72
	s_waitcnt vmcnt(0)
	v_lshrrev_b32_e32 v4, 16, v2
	s_delay_alu instid0(VALU_DEP_1) | instskip(NEXT) | instid1(VALU_DEP_3)
	v_mul_f16_e32 v90, v72, v4
	v_mul_f16_e32 v4, v48, v4
	s_delay_alu instid0(VALU_DEP_2) | instskip(NEXT) | instid1(VALU_DEP_2)
	v_fmac_f16_e32 v90, v48, v2
	v_fma_f16 v2, v72, v2, -v4
	v_pack_b32_f16 v4, v80, v87
	v_lshrrev_b32_e32 v72, 16, v61
	s_delay_alu instid0(VALU_DEP_3) | instskip(SKIP_3) | instid1(VALU_DEP_1)
	v_pack_b32_f16 v2, v2, v90
	ds_store_2addr_b32 v127, v2, v4 offset0:44 offset1:144
	v_lshrrev_b32_e32 v2, 16, v79
	v_lshrrev_b32_e32 v4, 16, v6
	v_mul_f16_e32 v48, v2, v4
	v_mul_f16_e32 v4, v79, v4
	s_delay_alu instid0(VALU_DEP_2) | instskip(NEXT) | instid1(VALU_DEP_2)
	v_fma_f16 v48, v79, v6, -v48
	v_fmac_f16_e32 v4, v2, v6
	global_load_b32 v2, v[0:1], off offset:3600
	v_lshrrev_b32_e32 v6, 16, v86
	s_delay_alu instid0(VALU_DEP_1) | instskip(SKIP_1) | instid1(VALU_DEP_2)
	v_mul_f16_e32 v79, v6, v72
	v_mul_f16_e32 v72, v86, v72
	v_fma_f16 v79, v86, v61, -v79
	s_delay_alu instid0(VALU_DEP_2)
	v_fmac_f16_e32 v72, v6, v61
	global_load_b32 v6, v[0:1], off offset:3200
	ds_load_2addr_b32 v[0:1], v157 offset0:32 offset1:132
	s_waitcnt lgkmcnt(0)
	v_lshrrev_b32_e32 v80, 16, v1
	s_waitcnt vmcnt(1)
	v_lshrrev_b32_e32 v61, 16, v2
	s_delay_alu instid0(VALU_DEP_1) | instskip(NEXT) | instid1(VALU_DEP_3)
	v_mul_f16_e32 v86, v1, v61
	v_mul_f16_e32 v61, v80, v61
	s_delay_alu instid0(VALU_DEP_2) | instskip(NEXT) | instid1(VALU_DEP_2)
	v_fmac_f16_e32 v86, v80, v2
	v_fma_f16 v1, v1, v2, -v61
	v_pack_b32_f16 v2, v79, v72
	s_delay_alu instid0(VALU_DEP_2) | instskip(SKIP_3) | instid1(VALU_DEP_1)
	v_pack_b32_f16 v1, v1, v86
	ds_store_2addr_b32 v157, v1, v2 offset0:132 offset1:232
	v_lshrrev_b32_e32 v1, 16, v82
	v_lshrrev_b32_e32 v2, 16, v8
	v_mul_f16_e32 v61, v1, v2
	v_mul_f16_e32 v2, v82, v2
	s_delay_alu instid0(VALU_DEP_2) | instskip(NEXT) | instid1(VALU_DEP_2)
	v_fma_f16 v61, v82, v8, -v61
	v_fmac_f16_e32 v2, v1, v8
	v_lshrrev_b32_e32 v1, 16, v77
	v_lshrrev_b32_e32 v8, 16, v10
	s_delay_alu instid0(VALU_DEP_1) | instskip(SKIP_1) | instid1(VALU_DEP_2)
	v_mul_f16_e32 v72, v1, v8
	v_mul_f16_e32 v8, v77, v8
	v_fma_f16 v77, v77, v10, -v72
	s_delay_alu instid0(VALU_DEP_2) | instskip(SKIP_3) | instid1(VALU_DEP_1)
	v_fmac_f16_e32 v8, v1, v10
	global_load_b32 v1, v[49:50], off offset:4016
	v_lshrrev_b32_e32 v10, 16, v89
	v_lshrrev_b32_e32 v49, 16, v78
	v_mul_f16_e32 v50, v10, v49
	v_mul_f16_e32 v72, v89, v49
	s_delay_alu instid0(VALU_DEP_2)
	v_fma_f16 v79, v89, v78, -v50
	ds_load_2addr_b32 v[49:50], v110 offset0:80 offset1:180
	v_fmac_f16_e32 v72, v10, v78
	s_waitcnt lgkmcnt(0)
	v_lshrrev_b32_e32 v78, 16, v50
	s_waitcnt vmcnt(0)
	v_lshrrev_b32_e32 v10, 16, v1
	s_delay_alu instid0(VALU_DEP_1) | instskip(NEXT) | instid1(VALU_DEP_3)
	v_mul_f16_e32 v80, v50, v10
	v_mul_f16_e32 v10, v78, v10
	s_delay_alu instid0(VALU_DEP_2) | instskip(NEXT) | instid1(VALU_DEP_2)
	v_fmac_f16_e32 v80, v78, v1
	v_fma_f16 v1, v50, v1, -v10
	v_pack_b32_f16 v10, v79, v72
	s_delay_alu instid0(VALU_DEP_2) | instskip(SKIP_3) | instid1(VALU_DEP_1)
	v_pack_b32_f16 v1, v1, v80
	ds_store_2addr_b32 v183, v1, v10 offset0:52 offset1:152
	v_lshrrev_b32_e32 v1, 16, v88
	v_lshrrev_b32_e32 v10, 16, v7
	v_mul_f16_e32 v50, v1, v10
	v_mul_f16_e32 v10, v88, v10
	s_delay_alu instid0(VALU_DEP_2) | instskip(NEXT) | instid1(VALU_DEP_2)
	v_fma_f16 v50, v88, v7, -v50
	v_fmac_f16_e32 v10, v1, v7
	global_load_b32 v1, v[73:74], off offset:2320
	ds_load_2addr_b32 v[72:73], v119 offset0:40 offset1:140
	s_waitcnt lgkmcnt(0)
	v_lshrrev_b32_e32 v74, 16, v73
	s_waitcnt vmcnt(0)
	v_lshrrev_b32_e32 v7, 16, v1
	s_delay_alu instid0(VALU_DEP_1) | instskip(NEXT) | instid1(VALU_DEP_3)
	v_mul_f16_e32 v78, v73, v7
	v_mul_f16_e32 v7, v74, v7
	s_delay_alu instid0(VALU_DEP_2) | instskip(NEXT) | instid1(VALU_DEP_2)
	v_fmac_f16_e32 v78, v74, v1
	v_fma_f16 v1, v73, v1, -v7
	ds_load_2addr_b32 v[73:74], v97 offset0:112 offset1:212
	v_lshrrev_b32_e32 v7, 16, v9
	v_pack_b32_f16 v1, v1, v78
	s_waitcnt lgkmcnt(0)
	v_lshrrev_b32_e32 v79, 16, v73
	s_delay_alu instid0(VALU_DEP_3) | instskip(NEXT) | instid1(VALU_DEP_2)
	v_mul_f16_e32 v80, v73, v7
	v_mul_f16_e32 v7, v79, v7
	s_delay_alu instid0(VALU_DEP_2) | instskip(NEXT) | instid1(VALU_DEP_2)
	v_fmac_f16_e32 v80, v79, v9
	v_fma_f16 v7, v73, v9, -v7
	s_delay_alu instid0(VALU_DEP_1) | instskip(SKIP_3) | instid1(VALU_DEP_1)
	v_pack_b32_f16 v7, v7, v80
	ds_store_2addr_b32 v119, v1, v7 offset0:140 offset1:240
	v_lshrrev_b32_e32 v1, 16, v71
	v_lshrrev_b32_e32 v7, 16, v3
	v_mul_f16_e32 v9, v1, v7
	v_mul_f16_e32 v7, v71, v7
	s_delay_alu instid0(VALU_DEP_2) | instskip(NEXT) | instid1(VALU_DEP_2)
	v_fma_f16 v9, v71, v3, -v9
	v_fmac_f16_e32 v7, v1, v3
	v_lshrrev_b32_e32 v1, 16, v0
	v_lshrrev_b32_e32 v3, 16, v6
	s_delay_alu instid0(VALU_DEP_1) | instskip(SKIP_1) | instid1(VALU_DEP_2)
	v_mul_f16_e32 v71, v1, v3
	v_mul_f16_e32 v3, v0, v3
	v_fma_f16 v0, v0, v6, -v71
	s_delay_alu instid0(VALU_DEP_2) | instskip(SKIP_2) | instid1(VALU_DEP_3)
	v_fmac_f16_e32 v3, v1, v6
	v_pack_b32_f16 v1, v81, v83
	v_pack_b32_f16 v6, v9, v7
	;; [unrolled: 1-line block ×3, first 2 shown]
	ds_store_2addr_b32 v148, v1, v6 offset0:100 offset1:200
	v_pack_b32_f16 v1, v48, v4
	v_lshrrev_b32_e32 v4, 16, v11
	ds_store_2addr_b32 v167, v1, v0 offset0:60 offset1:160
	v_lshrrev_b32_e32 v0, 16, v75
	v_lshrrev_b32_e32 v1, 16, v5
	s_delay_alu instid0(VALU_DEP_1) | instskip(SKIP_1) | instid1(VALU_DEP_2)
	v_mul_f16_e32 v3, v0, v1
	v_mul_f16_e32 v1, v75, v1
	v_fma_f16 v3, v75, v5, -v3
	s_delay_alu instid0(VALU_DEP_2) | instskip(SKIP_1) | instid1(VALU_DEP_2)
	v_fmac_f16_e32 v1, v0, v5
	v_lshrrev_b32_e32 v0, 16, v49
	v_pack_b32_f16 v1, v3, v1
	s_delay_alu instid0(VALU_DEP_2) | instskip(SKIP_2) | instid1(VALU_DEP_3)
	v_mul_f16_e32 v5, v0, v4
	v_mul_f16_e32 v4, v49, v4
	v_lshrrev_b32_e32 v3, 16, v60
	v_fma_f16 v5, v49, v11, -v5
	s_delay_alu instid0(VALU_DEP_3)
	v_fmac_f16_e32 v4, v0, v11
	v_pack_b32_f16 v0, v61, v2
	ds_store_2addr_b32 v149, v0, v1 offset0:20 offset1:120
	v_pack_b32_f16 v0, v77, v8
	v_pack_b32_f16 v1, v5, v4
	ds_store_2addr_b32 v144, v0, v1 offset0:108 offset1:208
	v_lshrrev_b32_e32 v0, 16, v72
	v_lshrrev_b32_e32 v1, 16, v76
	s_delay_alu instid0(VALU_DEP_1) | instskip(SKIP_1) | instid1(VALU_DEP_2)
	v_mul_f16_e32 v2, v0, v1
	v_mul_f16_e32 v1, v72, v1
	v_fma_f16 v2, v72, v76, -v2
	s_delay_alu instid0(VALU_DEP_2) | instskip(SKIP_1) | instid1(VALU_DEP_2)
	v_fmac_f16_e32 v1, v0, v76
	v_lshrrev_b32_e32 v0, 16, v74
	v_pack_b32_f16 v1, v2, v1
	s_delay_alu instid0(VALU_DEP_2) | instskip(SKIP_1) | instid1(VALU_DEP_2)
	v_mul_f16_e32 v4, v0, v3
	v_mul_f16_e32 v3, v74, v3
	v_fma_f16 v4, v74, v60, -v4
	s_delay_alu instid0(VALU_DEP_2)
	v_fmac_f16_e32 v3, v0, v60
	v_pack_b32_f16 v0, v50, v10
	ds_store_2addr_b32 v125, v0, v1 offset0:68 offset1:168
	v_pack_b32_f16 v0, v4, v3
	ds_store_b32 v148, v0 offset:11600
	s_waitcnt lgkmcnt(0)
	s_barrier
	buffer_gl0_inv
	ds_load_2addr_b32 v[71:72], v144 offset0:8 offset1:108
	ds_load_2addr_b32 v[49:50], v136 offset0:96 offset1:196
	;; [unrolled: 1-line block ×4, first 2 shown]
	ds_load_2addr_b32 v[88:89], v148 offset1:100
	ds_load_2addr_b32 v[75:76], v110 offset0:80 offset1:180
	ds_load_2addr_b32 v[73:74], v119 offset0:40 offset1:140
	ds_load_2addr_b32 v[79:80], v157 offset0:32 offset1:132
	ds_load_2addr_b32 v[81:82], v149 offset0:120 offset1:220
	v_lshrrev_b32_e32 v62, 16, v54
	s_waitcnt lgkmcnt(8)
	v_lshrrev_b32_e32 v5, 16, v71
	s_waitcnt lgkmcnt(7)
	v_sub_f16_e32 v2, v71, v49
	s_waitcnt lgkmcnt(6)
	v_lshrrev_b32_e32 v8, 16, v0
	s_waitcnt lgkmcnt(5)
	v_sub_f16_e32 v3, v86, v0
	v_lshrrev_b32_e32 v4, 16, v86
	v_lshrrev_b32_e32 v9, 16, v49
	s_waitcnt lgkmcnt(4)
	v_lshrrev_b32_e32 v11, 16, v88
	v_sub_f16_e32 v83, v0, v49
	v_add_f16_e32 v2, v3, v2
	v_add_f16_e32 v3, v0, v49
	v_sub_f16_e32 v6, v4, v5
	v_sub_f16_e32 v10, v8, v9
	v_add_f16_e32 v48, v8, v9
	v_sub_f16_e32 v60, v5, v9
	v_fma_f16 v3, -0.5, v3, v88
	s_waitcnt lgkmcnt(0)
	v_sub_f16_e32 v77, v82, v80
	v_add_f16_e32 v90, v80, v74
	v_lshrrev_b32_e32 v92, 16, v82
	v_lshrrev_b32_e32 v93, 16, v76
	v_fmamk_f16 v7, v6, 0x3b9c, v3
	v_fmac_f16_e32 v3, 0xbb9c, v6
	v_lshrrev_b32_e32 v95, 16, v80
	v_lshrrev_b32_e32 v96, 16, v74
	v_sub_f16_e32 v94, v92, v93
	v_fmac_f16_e32 v7, 0xb8b4, v10
	v_fmac_f16_e32 v3, 0x38b4, v10
	v_sub_f16_e32 v104, v80, v74
	v_sub_f16_e32 v99, v95, v96
	v_add_f16_e32 v101, v95, v96
	v_fmac_f16_e32 v7, 0x34f2, v2
	v_fmac_f16_e32 v3, 0x34f2, v2
	v_add_f16_e32 v2, v4, v5
	v_sub_f16_e32 v102, v93, v96
	v_sub_f16_e32 v5, v9, v5
	;; [unrolled: 1-line block ×3, first 2 shown]
	v_pk_add_f16 v0, v88, v0
	v_fma_f16 v2, -0.5, v2, v11
	v_fmac_f16_e32 v11, -0.5, v48
	v_sub_f16_e32 v48, v4, v8
	v_sub_f16_e32 v4, v8, v4
	;; [unrolled: 1-line block ×3, first 2 shown]
	v_pk_add_f16 v0, v0, v86
	s_delay_alu instid0(VALU_DEP_4) | instskip(SKIP_1) | instid1(VALU_DEP_4)
	v_add_f16_e32 v48, v48, v60
	v_sub_f16_e32 v60, v86, v71
	v_add_f16_e32 v8, v9, v8
	v_add_f16_e32 v4, v4, v5
	v_sub_f16_e32 v5, v95, v92
	v_sub_f16_e32 v9, v96, v93
	v_fmamk_f16 v61, v60, 0xbb9c, v11
	v_fmac_f16_e32 v11, 0x3b9c, v60
	v_pk_add_f16 v0, v0, v71
	s_delay_alu instid0(VALU_DEP_4) | instskip(NEXT) | instid1(VALU_DEP_4)
	v_add_f16_e32 v5, v5, v9
	v_fmac_f16_e32 v61, 0x38b4, v83
	s_delay_alu instid0(VALU_DEP_4)
	v_fmac_f16_e32 v11, 0xb8b4, v83
	v_add_f16_e32 v9, v82, v76
	v_pk_add_f16 v0, v0, v49
	v_lshrrev_b32_e32 v49, 16, v50
	v_fmac_f16_e32 v61, 0x34f2, v48
	v_fmac_f16_e32 v11, 0x34f2, v48
	v_sub_f16_e32 v48, v76, v74
	s_delay_alu instid0(VALU_DEP_1)
	v_add_f16_e32 v48, v77, v48
	ds_load_2addr_b32 v[77:78], v160 offset0:72 offset1:172
	s_waitcnt lgkmcnt(0)
	v_fma_f16 v90, -0.5, v90, v78
	v_lshrrev_b32_e32 v100, 16, v78
	v_fma_f16 v9, -0.5, v9, v78
	s_delay_alu instid0(VALU_DEP_3) | instskip(SKIP_1) | instid1(VALU_DEP_2)
	v_fmamk_f16 v91, v94, 0x3b9c, v90
	v_fmac_f16_e32 v90, 0xbb9c, v94
	v_fmac_f16_e32 v91, 0xb8b4, v99
	s_delay_alu instid0(VALU_DEP_2) | instskip(NEXT) | instid1(VALU_DEP_2)
	v_fmac_f16_e32 v90, 0x38b4, v99
	v_fmac_f16_e32 v91, 0x34f2, v48
	s_delay_alu instid0(VALU_DEP_2) | instskip(SKIP_2) | instid1(VALU_DEP_2)
	v_fmac_f16_e32 v90, 0x34f2, v48
	v_add_f16_e32 v48, v92, v93
	v_sub_f16_e32 v93, v80, v82
	v_fma_f16 v48, -0.5, v48, v100
	v_fmac_f16_e32 v100, -0.5, v101
	v_sub_f16_e32 v101, v92, v95
	v_sub_f16_e32 v92, v74, v76
	s_delay_alu instid0(VALU_DEP_2) | instskip(SKIP_1) | instid1(VALU_DEP_3)
	v_add_f16_e32 v101, v101, v102
	v_sub_f16_e32 v102, v82, v76
	v_add_f16_e32 v95, v93, v92
	v_fmamk_f16 v93, v99, 0xbb9c, v9
	v_fmamk_f16 v92, v104, 0x3b9c, v48
	v_fmac_f16_e32 v48, 0xbb9c, v104
	v_fmamk_f16 v103, v102, 0xbb9c, v100
	v_fmac_f16_e32 v100, 0x3b9c, v102
	v_fmac_f16_e32 v93, 0xb8b4, v94
	;; [unrolled: 1-line block ×12, first 2 shown]
	v_mul_f16_e32 v96, 0xb8b4, v92
	v_fmac_f16_e32 v48, 0x34f2, v5
	v_mul_f16_e32 v101, 0x34f2, v103
	v_mul_f16_e32 v111, 0xbb9c, v100
	;; [unrolled: 1-line block ×4, first 2 shown]
	v_fmac_f16_e32 v96, 0x3a79, v93
	v_fmac_f16_e32 v101, 0x3b9c, v91
	;; [unrolled: 1-line block ×6, first 2 shown]
	v_add_f16_e32 v103, v61, v101
	v_add_f16_e32 v90, v3, v111
	;; [unrolled: 1-line block ×3, first 2 shown]
	v_sub_f16_e32 v61, v61, v101
	v_fmamk_f16 v101, v83, 0x3b9c, v2
	v_fmac_f16_e32 v2, 0xbb9c, v83
	s_delay_alu instid0(VALU_DEP_4) | instskip(SKIP_4) | instid1(VALU_DEP_4)
	v_pack_b32_f16 v91, v90, v91
	v_add_f16_e32 v90, v7, v100
	v_sub_f16_e32 v7, v7, v100
	v_fmac_f16_e32 v101, 0x38b4, v60
	v_fmac_f16_e32 v2, 0xb8b4, v60
	v_pack_b32_f16 v90, v90, v103
	v_mul_f16_e32 v103, 0x38b4, v93
	s_delay_alu instid0(VALU_DEP_4)
	v_fmac_f16_e32 v101, 0x34f2, v4
	v_pack_b32_f16 v93, v7, v61
	v_fmac_f16_e32 v2, 0x34f2, v4
	v_mul_f16_e32 v4, 0xb8b4, v48
	v_fmac_f16_e32 v103, 0x3a79, v92
	v_add_f16_e32 v92, v86, v71
	s_delay_alu instid0(VALU_DEP_3) | instskip(NEXT) | instid1(VALU_DEP_3)
	v_fmac_f16_e32 v4, 0xba79, v9
	v_sub_f16_e32 v61, v101, v103
	s_delay_alu instid0(VALU_DEP_3) | instskip(SKIP_1) | instid1(VALU_DEP_2)
	v_fma_f16 v115, -0.5, v92, v88
	v_add_f16_e32 v5, v101, v103
	v_fmamk_f16 v100, v10, 0xbb9c, v115
	v_fmac_f16_e32 v115, 0x3b9c, v10
	v_lshrrev_b32_e32 v10, 16, v1
	s_delay_alu instid0(VALU_DEP_3) | instskip(NEXT) | instid1(VALU_DEP_3)
	v_fmac_f16_e32 v100, 0xb8b4, v6
	v_fmac_f16_e32 v115, 0x38b4, v6
	v_mul_f16_e32 v6, 0xba79, v48
	v_sub_f16_e32 v48, v1, v50
	s_delay_alu instid0(VALU_DEP_4) | instskip(NEXT) | instid1(VALU_DEP_4)
	v_fmac_f16_e32 v100, 0x34f2, v8
	v_fmac_f16_e32 v115, 0x34f2, v8
	v_pk_add_f16 v8, v78, v80
	v_fmac_f16_e32 v6, 0x38b4, v9
	v_sub_f16_e32 v9, v87, v1
	v_sub_f16_e32 v7, v100, v96
	s_delay_alu instid0(VALU_DEP_4) | instskip(NEXT) | instid1(VALU_DEP_2)
	v_pk_add_f16 v8, v8, v82
	v_pack_b32_f16 v92, v7, v61
	v_add_f16_e32 v7, v100, v96
	s_delay_alu instid0(VALU_DEP_3)
	v_pk_add_f16 v8, v8, v76
	ds_load_2addr_b32 v[99:100], v127 offset0:144 offset1:244
	ds_load_2addr_b32 v[101:102], v186 offset0:104 offset1:204
	;; [unrolled: 1-line block ×5, first 2 shown]
	s_waitcnt lgkmcnt(0)
	s_barrier
	v_pack_b32_f16 v83, v7, v5
	v_pk_add_f16 v8, v8, v74
	v_add_f16_e32 v5, v2, v6
	buffer_gl0_inv
	v_sub_f16_e32 v2, v2, v6
	v_lshrrev_b32_e32 v7, 16, v87
	v_pk_add_f16 v82, v0, v8
	v_pk_add_f16 v95, v0, v8 neg_lo:[0,1] neg_hi:[0,1]
	v_add_f16_e32 v0, v115, v4
	v_sub_f16_e32 v61, v10, v49
	v_lshrrev_b32_e32 v74, 16, v89
	v_sub_f16_e32 v6, v87, v72
	v_sub_f16_e32 v8, v1, v87
	v_pack_b32_f16 v94, v0, v5
	v_sub_f16_e32 v0, v3, v111
	v_sub_f16_e32 v3, v115, v4
	;; [unrolled: 1-line block ×3, first 2 shown]
	ds_store_2addr_b64 v162, v[82:83], v[90:91] offset1:1
	ds_store_2addr_b64 v162, v[94:95], v[92:93] offset0:2 offset1:3
	v_sub_f16_e32 v5, v72, v50
	v_add_f16_e32 v11, v1, v50
	v_pack_b32_f16 v83, v3, v2
	v_pack_b32_f16 v82, v0, v4
	v_pk_add_f16 v0, v89, v1
	v_lshrrev_b32_e32 v3, 16, v72
	v_sub_f16_e32 v4, v50, v72
	v_add_f16_e32 v2, v87, v72
	v_lshrrev_b32_e32 v71, 16, v103
	v_pk_add_f16 v0, v0, v87
	v_sub_f16_e32 v1, v3, v49
	ds_store_b64 v162, v[82:83] offset:32
	v_lshrrev_b32_e32 v82, 16, v101
	v_lshrrev_b32_e32 v83, 16, v117
	v_pk_add_f16 v0, v0, v72
	v_lshrrev_b32_e32 v72, 16, v107
	v_lshrrev_b32_e32 v87, 16, v99
	v_fma_f16 v2, -0.5, v2, v89
	v_sub_f16_e32 v86, v82, v83
	v_pk_add_f16 v60, v0, v50
	v_add_f16_e32 v0, v9, v5
	v_fma_f16 v5, -0.5, v11, v89
	v_sub_f16_e32 v9, v7, v3
	v_sub_f16_e32 v78, v71, v72
	;; [unrolled: 1-line block ×4, first 2 shown]
	v_add_f16_e32 v4, v8, v4
	v_fmamk_f16 v11, v9, 0x3b9c, v5
	v_fmac_f16_e32 v5, 0xbb9c, v9
	v_sub_f16_e32 v8, v83, v72
	v_mov_b32_e32 v111, v59
	s_delay_alu instid0(VALU_DEP_4) | instskip(NEXT) | instid1(VALU_DEP_4)
	v_fmac_f16_e32 v11, 0xb8b4, v61
	v_fmac_f16_e32 v5, 0x38b4, v61
	s_delay_alu instid0(VALU_DEP_2) | instskip(NEXT) | instid1(VALU_DEP_2)
	v_fmac_f16_e32 v11, 0x34f2, v0
	v_fmac_f16_e32 v5, 0x34f2, v0
	v_add_f16_e32 v0, v7, v3
	v_sub_f16_e32 v3, v49, v3
	s_delay_alu instid0(VALU_DEP_2) | instskip(SKIP_2) | instid1(VALU_DEP_2)
	v_fma_f16 v76, -0.5, v0, v74
	v_add_f16_e32 v0, v10, v49
	v_sub_f16_e32 v49, v101, v103
	v_fmac_f16_e32 v74, -0.5, v0
	v_sub_f16_e32 v0, v7, v10
	v_sub_f16_e32 v7, v10, v7
	v_sub_f16_e32 v10, v117, v107
	s_delay_alu instid0(VALU_DEP_4)
	v_fmamk_f16 v50, v6, 0xbb9c, v74
	v_fmac_f16_e32 v74, 0x3b9c, v6
	v_add_f16_e32 v0, v0, v1
	v_sub_f16_e32 v1, v103, v101
	v_add_f16_e32 v3, v7, v3
	v_fmac_f16_e32 v50, 0x38b4, v48
	v_fmac_f16_e32 v74, 0xb8b4, v48
	v_sub_f16_e32 v7, v82, v71
	v_add_f16_e32 v10, v49, v10
	s_delay_alu instid0(VALU_DEP_4) | instskip(NEXT) | instid1(VALU_DEP_4)
	v_fmac_f16_e32 v50, 0x34f2, v0
	v_fmac_f16_e32 v74, 0x34f2, v0
	v_sub_f16_e32 v0, v107, v117
	v_add_f16_e32 v7, v7, v8
	v_add_f16_e32 v8, v103, v107
	s_delay_alu instid0(VALU_DEP_3) | instskip(SKIP_1) | instid1(VALU_DEP_3)
	v_add_f16_e32 v0, v1, v0
	v_add_f16_e32 v1, v101, v117
	v_fma_f16 v8, -0.5, v8, v99
	s_delay_alu instid0(VALU_DEP_2) | instskip(NEXT) | instid1(VALU_DEP_1)
	v_fma_f16 v1, -0.5, v1, v99
	v_fmamk_f16 v80, v78, 0x3b9c, v1
	v_fmac_f16_e32 v1, 0xbb9c, v78
	s_delay_alu instid0(VALU_DEP_2) | instskip(NEXT) | instid1(VALU_DEP_2)
	v_fmac_f16_e32 v80, 0xb8b4, v86
	v_fmac_f16_e32 v1, 0x38b4, v86
	s_delay_alu instid0(VALU_DEP_2) | instskip(NEXT) | instid1(VALU_DEP_2)
	v_fmac_f16_e32 v80, 0x34f2, v0
	v_fmac_f16_e32 v1, 0x34f2, v0
	v_add_f16_e32 v0, v71, v72
	s_delay_alu instid0(VALU_DEP_1) | instskip(SKIP_1) | instid1(VALU_DEP_2)
	v_fma_f16 v88, -0.5, v0, v87
	v_add_f16_e32 v0, v82, v83
	v_fmamk_f16 v49, v91, 0x3b9c, v88
	s_delay_alu instid0(VALU_DEP_2)
	v_fmac_f16_e32 v87, -0.5, v0
	v_sub_f16_e32 v0, v71, v82
	v_fmamk_f16 v71, v86, 0xbb9c, v8
	v_fmac_f16_e32 v88, 0xbb9c, v91
	v_fmamk_f16 v82, v48, 0x3b9c, v76
	v_fmac_f16_e32 v76, 0xbb9c, v48
	v_add_f16_e32 v0, v0, v89
	v_sub_f16_e32 v89, v103, v107
	v_fmac_f16_e32 v71, 0xb8b4, v78
	v_fmac_f16_e32 v82, 0x38b4, v6
	v_fmac_f16_e32 v8, 0x3b9c, v86
	v_fmac_f16_e32 v76, 0xb8b4, v6
	v_fmamk_f16 v90, v89, 0xbb9c, v87
	v_fmac_f16_e32 v87, 0x3b9c, v89
	v_fmac_f16_e32 v49, 0x38b4, v89
	v_fmac_f16_e32 v71, 0x34f2, v10
	v_fmac_f16_e32 v88, 0xb8b4, v89
	v_fmac_f16_e32 v90, 0x38b4, v91
	v_fmac_f16_e32 v87, 0xb8b4, v91
	v_fmac_f16_e32 v49, 0x34f2, v7
	v_fmac_f16_e32 v82, 0x34f2, v3
	v_fmac_f16_e32 v88, 0x34f2, v7
	v_fmac_f16_e32 v90, 0x34f2, v0
	v_fmac_f16_e32 v87, 0x34f2, v0
	v_mul_f16_e32 v72, 0xb8b4, v49
	v_pk_add_f16 v7, v99, v101
	v_fmac_f16_e32 v8, 0x38b4, v78
	v_mul_f16_e32 v93, 0xbb9c, v90
	v_mul_f16_e32 v92, 0xbb9c, v87
	v_mul_f16_e32 v87, 0xb4f2, v87
	v_mul_f16_e32 v90, 0x34f2, v90
	v_fmac_f16_e32 v72, 0x3a79, v71
	v_fmac_f16_e32 v93, 0x34f2, v80
	;; [unrolled: 1-line block ×5, first 2 shown]
	v_mul_f16_e32 v71, 0x38b4, v71
	v_pk_add_f16 v7, v7, v103
	v_add_f16_e32 v0, v5, v92
	v_add_f16_e32 v1, v74, v87
	;; [unrolled: 1-line block ×3, first 2 shown]
	v_fmac_f16_e32 v71, 0x3a79, v49
	v_sub_f16_e32 v49, v50, v90
	v_fmac_f16_e32 v76, 0x34f2, v3
	v_pack_b32_f16 v1, v0, v1
	v_add_f16_e32 v0, v11, v93
	v_sub_f16_e32 v11, v11, v93
	v_fmac_f16_e32 v8, 0x34f2, v10
	v_mul_f16_e32 v3, 0xb8b4, v88
	v_pk_add_f16 v7, v7, v107
	v_pack_b32_f16 v0, v0, v80
	v_fmamk_f16 v80, v61, 0xbb9c, v2
	v_fmac_f16_e32 v2, 0x3b9c, v61
	v_pack_b32_f16 v50, v11, v49
	v_sub_f16_e32 v49, v82, v71
	v_add_f16_e32 v6, v82, v71
	v_fmac_f16_e32 v80, 0xb8b4, v9
	v_fmac_f16_e32 v2, 0x38b4, v9
	;; [unrolled: 1-line block ×3, first 2 shown]
	v_pk_add_f16 v7, v7, v117
	v_add_f16_e32 v10, v79, v73
	v_fmac_f16_e32 v80, 0x34f2, v4
	v_fmac_f16_e32 v2, 0x34f2, v4
	v_mul_f16_e32 v4, 0xba79, v88
	v_pk_add_f16 v71, v60, v7
	v_pk_add_f16 v83, v60, v7 neg_lo:[0,1] neg_hi:[0,1]
	v_sub_f16_e32 v11, v80, v72
	v_lshrrev_b32_e32 v9, 16, v79
	v_fmac_f16_e32 v4, 0x38b4, v8
	v_sub_f16_e32 v8, v81, v79
	v_lshrrev_b32_e32 v86, 16, v118
	v_pack_b32_f16 v49, v11, v49
	v_add_f16_e32 v11, v80, v72
	v_add_f16_e32 v7, v76, v4
	v_lshrrev_b32_e32 v80, 16, v102
	v_sub_f16_e32 v78, v102, v104
	v_mov_b32_e32 v107, v97
	v_pack_b32_f16 v72, v11, v6
	v_add_f16_e32 v6, v2, v3
	v_sub_f16_e32 v11, v79, v73
	s_delay_alu instid0(VALU_DEP_2)
	v_pack_b32_f16 v82, v6, v7
	ds_store_2addr_b64 v165, v[71:72], v[0:1] offset1:1
	ds_store_2addr_b64 v165, v[82:83], v[49:50] offset0:2 offset1:3
	v_sub_f16_e32 v0, v5, v92
	v_sub_f16_e32 v1, v2, v3
	;; [unrolled: 1-line block ×5, first 2 shown]
	v_lshrrev_b32_e32 v6, 16, v81
	v_lshrrev_b32_e32 v49, 16, v73
	v_pack_b32_f16 v1, v1, v2
	v_pack_b32_f16 v0, v0, v3
	v_lshrrev_b32_e32 v2, 16, v75
	v_sub_f16_e32 v3, v73, v75
	v_sub_f16_e32 v60, v9, v49
	;; [unrolled: 1-line block ×3, first 2 shown]
	ds_store_b64 v165, v[0:1] offset:32
	v_pk_add_f16 v0, v77, v79
	v_add_f16_e32 v1, v81, v75
	v_sub_f16_e32 v7, v79, v81
	v_lshrrev_b32_e32 v71, 16, v108
	v_sub_f16_e32 v79, v104, v102
	v_pk_add_f16 v0, v0, v81
	v_fma_f16 v61, -0.5, v1, v77
	v_sub_f16_e32 v1, v2, v49
	v_add_f16_e32 v81, v102, v118
	v_sub_f16_e32 v87, v80, v86
	v_pk_add_f16 v0, v0, v75
	v_lshrrev_b32_e32 v75, 16, v77
	v_sub_f16_e32 v74, v104, v108
	v_sub_f16_e32 v90, v71, v86
	;; [unrolled: 1-line block ×3, first 2 shown]
	v_pk_add_f16 v48, v0, v73
	v_add_f16_e32 v0, v8, v4
	v_fma_f16 v4, -0.5, v10, v77
	v_sub_f16_e32 v8, v6, v2
	v_sub_f16_e32 v73, v108, v118
	v_lshrrev_b32_e32 v77, 16, v104
	v_sub_f16_e32 v72, v118, v108
	v_add_f16_e32 v3, v7, v3
	v_fmamk_f16 v10, v8, 0x3b9c, v4
	v_fmac_f16_e32 v4, 0xbb9c, v8
	s_delay_alu instid0(VALU_DEP_2) | instskip(NEXT) | instid1(VALU_DEP_2)
	v_fmac_f16_e32 v10, 0xb8b4, v60
	v_fmac_f16_e32 v4, 0x38b4, v60
	s_delay_alu instid0(VALU_DEP_2) | instskip(NEXT) | instid1(VALU_DEP_2)
	v_fmac_f16_e32 v10, 0x34f2, v0
	v_fmac_f16_e32 v4, 0x34f2, v0
	v_add_f16_e32 v0, v6, v2
	v_sub_f16_e32 v2, v49, v2
	s_delay_alu instid0(VALU_DEP_2) | instskip(SKIP_2) | instid1(VALU_DEP_2)
	v_fma_f16 v76, -0.5, v0, v75
	v_add_f16_e32 v0, v9, v49
	v_sub_f16_e32 v49, v86, v71
	v_fmac_f16_e32 v75, -0.5, v0
	v_sub_f16_e32 v0, v6, v9
	v_sub_f16_e32 v6, v9, v6
	;; [unrolled: 1-line block ×3, first 2 shown]
	s_delay_alu instid0(VALU_DEP_4)
	v_fmamk_f16 v50, v5, 0xbb9c, v75
	v_fmac_f16_e32 v75, 0x3b9c, v5
	v_add_f16_e32 v0, v0, v1
	v_add_f16_e32 v1, v104, v108
	;; [unrolled: 1-line block ×3, first 2 shown]
	v_fmac_f16_e32 v50, 0x38b4, v11
	v_fmac_f16_e32 v75, 0xb8b4, v11
	v_add_f16_e32 v2, v6, v2
	v_fma_f16 v88, -0.5, v1, v100
	v_add_f16_e32 v1, v77, v71
	v_fmac_f16_e32 v50, 0x34f2, v0
	v_fmac_f16_e32 v75, 0x34f2, v0
	v_pk_add_f16 v0, v100, v102
	v_fmamk_f16 v49, v87, 0xbb9c, v88
	v_add_f16_e32 v6, v78, v72
	v_fmac_f16_e32 v88, 0x3b9c, v87
	s_delay_alu instid0(VALU_DEP_4) | instskip(NEXT) | instid1(VALU_DEP_1)
	v_pk_add_f16 v0, v0, v104
	v_pk_add_f16 v0, v0, v108
	v_mov_b32_e32 v108, v84
	s_delay_alu instid0(VALU_DEP_2) | instskip(SKIP_3) | instid1(VALU_DEP_1)
	v_pk_add_f16 v83, v0, v118
	v_add_f16_e32 v0, v79, v73
	v_fma_f16 v73, -0.5, v81, v100
	v_sub_f16_e32 v79, v77, v71
	v_fmamk_f16 v81, v79, 0x3b9c, v73
	v_fmac_f16_e32 v73, 0xbb9c, v79
	v_fmac_f16_e32 v49, 0xb8b4, v79
	;; [unrolled: 1-line block ×3, first 2 shown]
	s_delay_alu instid0(VALU_DEP_4) | instskip(NEXT) | instid1(VALU_DEP_4)
	v_fmac_f16_e32 v81, 0xb8b4, v87
	v_fmac_f16_e32 v73, 0x38b4, v87
	s_delay_alu instid0(VALU_DEP_4) | instskip(NEXT) | instid1(VALU_DEP_4)
	v_fmac_f16_e32 v49, 0x34f2, v6
	v_fmac_f16_e32 v88, 0x34f2, v6
	;; [unrolled: 3-line block ×3, first 2 shown]
	v_lshrrev_b32_e32 v0, 16, v100
	v_mul_f16_e32 v72, 0x38b4, v49
	s_delay_alu instid0(VALU_DEP_2) | instskip(SKIP_1) | instid1(VALU_DEP_2)
	v_fma_f16 v89, -0.5, v1, v0
	v_add_f16_e32 v1, v80, v86
	v_fmamk_f16 v9, v82, 0x3b9c, v89
	s_delay_alu instid0(VALU_DEP_2)
	v_fmac_f16_e32 v0, -0.5, v1
	v_sub_f16_e32 v1, v77, v80
	v_fmamk_f16 v77, v11, 0x3b9c, v76
	v_fmac_f16_e32 v89, 0xbb9c, v82
	v_fmac_f16_e32 v9, 0x38b4, v74
	;; [unrolled: 1-line block ×3, first 2 shown]
	v_add_f16_e32 v1, v1, v90
	v_fmamk_f16 v90, v74, 0xbb9c, v0
	v_fmac_f16_e32 v0, 0x3b9c, v74
	v_fmac_f16_e32 v9, 0x34f2, v7
	;; [unrolled: 1-line block ×6, first 2 shown]
	v_mul_f16_e32 v71, 0xb8b4, v9
	v_fmac_f16_e32 v72, 0x3a79, v9
	v_fmac_f16_e32 v77, 0x34f2, v2
	;; [unrolled: 1-line block ×7, first 2 shown]
	v_add_f16_e32 v5, v77, v72
	v_mul_f16_e32 v91, 0xbb9c, v0
	v_mul_f16_e32 v92, 0xb4f2, v0
	v_fmac_f16_e32 v76, 0x34f2, v2
	v_mul_f16_e32 v2, 0xb8b4, v89
	v_pk_add_f16 v74, v48, v83 neg_lo:[0,1] neg_hi:[0,1]
	v_fmac_f16_e32 v91, 0xb4f2, v73
	v_fmac_f16_e32 v92, 0x3b9c, v73
	v_mul_f16_e32 v73, 0xbb9c, v90
	v_mul_f16_e32 v90, 0x34f2, v90
	v_fmac_f16_e32 v2, 0xba79, v88
	v_add_f16_e32 v0, v4, v91
	v_add_f16_e32 v1, v75, v92
	v_fmac_f16_e32 v73, 0x34f2, v81
	v_fmac_f16_e32 v90, 0x3b9c, v81
	v_lshrrev_b32_e32 v7, 16, v67
	s_delay_alu instid0(VALU_DEP_4) | instskip(NEXT) | instid1(VALU_DEP_4)
	v_pack_b32_f16 v1, v0, v1
	v_add_f16_e32 v0, v10, v73
	v_sub_f16_e32 v9, v10, v73
	v_fmamk_f16 v73, v60, 0xbb9c, v61
	v_fmac_f16_e32 v61, 0x3b9c, v60
	v_sub_f16_e32 v10, v50, v90
	v_add_f16_e32 v81, v50, v90
	s_delay_alu instid0(VALU_DEP_4) | instskip(NEXT) | instid1(VALU_DEP_4)
	v_fmac_f16_e32 v73, 0xb8b4, v8
	v_fmac_f16_e32 v61, 0x38b4, v8
	s_delay_alu instid0(VALU_DEP_4)
	v_pack_b32_f16 v50, v9, v10
	v_sub_f16_e32 v10, v77, v72
	v_pack_b32_f16 v0, v0, v81
	v_fmac_f16_e32 v73, 0x34f2, v3
	v_fmac_f16_e32 v61, 0x34f2, v3
	v_mul_f16_e32 v3, 0xba79, v89
	s_delay_alu instid0(VALU_DEP_3) | instskip(NEXT) | instid1(VALU_DEP_2)
	v_sub_f16_e32 v9, v73, v71
	v_fmac_f16_e32 v3, 0x38b4, v88
	s_delay_alu instid0(VALU_DEP_2) | instskip(SKIP_1) | instid1(VALU_DEP_3)
	v_pack_b32_f16 v49, v9, v10
	v_add_f16_e32 v9, v73, v71
	v_add_f16_e32 v6, v76, v3
	v_pk_add_f16 v71, v48, v83
	v_lshrrev_b32_e32 v48, 16, v224
	s_delay_alu instid0(VALU_DEP_4) | instskip(SKIP_2) | instid1(VALU_DEP_2)
	v_pack_b32_f16 v72, v9, v5
	v_add_f16_e32 v5, v61, v2
	v_lshrrev_b32_e32 v9, 16, v68
	v_pack_b32_f16 v73, v5, v6
	ds_store_2addr_b64 v164, v[71:72], v[0:1] offset1:1
	ds_store_2addr_b64 v164, v[73:74], v[49:50] offset0:2 offset1:3
	v_sub_f16_e32 v0, v4, v91
	v_sub_f16_e32 v1, v61, v2
	;; [unrolled: 1-line block ×4, first 2 shown]
	v_lshrrev_b32_e32 v4, 16, v65
	v_lshrrev_b32_e32 v6, 16, v66
	s_delay_alu instid0(VALU_DEP_4) | instskip(NEXT) | instid1(VALU_DEP_4)
	v_pack_b32_f16 v1, v1, v2
	v_pack_b32_f16 v0, v0, v3
	ds_store_b64 v164, v[0:1] offset:32
	s_waitcnt lgkmcnt(0)
	s_barrier
	buffer_gl0_inv
	ds_load_2addr_b32 v[0:1], v186 offset0:104 offset1:204
	ds_load_2addr_b32 v[49:50], v110 offset0:80 offset1:180
	s_waitcnt lgkmcnt(1)
	v_lshrrev_b32_e32 v2, 16, v0
	v_mul_f16_e32 v3, v4, v0
	s_waitcnt lgkmcnt(0)
	v_mul_f16_e32 v5, v6, v49
	s_delay_alu instid0(VALU_DEP_3) | instskip(NEXT) | instid1(VALU_DEP_3)
	v_mul_f16_e32 v4, v4, v2
	v_fma_f16 v2, v65, v2, -v3
	v_lshrrev_b32_e32 v3, 16, v49
	s_delay_alu instid0(VALU_DEP_3) | instskip(SKIP_1) | instid1(VALU_DEP_3)
	v_fmac_f16_e32 v4, v65, v0
	v_lshrrev_b32_e32 v0, 16, v1
	v_mul_f16_e32 v6, v6, v3
	v_fma_f16 v3, v66, v3, -v5
	s_delay_alu instid0(VALU_DEP_3) | instskip(NEXT) | instid1(VALU_DEP_3)
	v_mul_f16_e32 v5, v7, v0
	v_fmac_f16_e32 v6, v66, v49
	s_delay_alu instid0(VALU_DEP_2) | instskip(SKIP_2) | instid1(VALU_DEP_2)
	v_fmac_f16_e32 v5, v67, v1
	v_mul_f16_e32 v1, v7, v1
	v_lshrrev_b32_e32 v7, 16, v50
	v_fma_f16 v10, v67, v0, -v1
	s_delay_alu instid0(VALU_DEP_2)
	v_mul_f16_e32 v8, v9, v7
	ds_load_2addr_b32 v[0:1], v59 offset0:48 offset1:148
	v_mul_f16_e32 v9, v9, v50
	v_lshrrev_b32_e32 v59, 16, v225
	v_fmac_f16_e32 v8, v68, v50
	ds_load_2addr_b32 v[49:50], v183 offset0:152 offset1:252
	v_fma_f16 v7, v68, v7, -v9
	s_waitcnt lgkmcnt(1)
	v_lshrrev_b32_e32 v9, 16, v0
	v_mul_f16_e32 v11, v48, v0
	s_delay_alu instid0(VALU_DEP_2) | instskip(NEXT) | instid1(VALU_DEP_2)
	v_mul_f16_e32 v48, v48, v9
	v_fma_f16 v9, v224, v9, -v11
	s_waitcnt lgkmcnt(0)
	v_lshrrev_b32_e32 v11, 16, v49
	v_mul_f16_e32 v60, v59, v49
	v_fmac_f16_e64 v48, v224, v0
	v_lshrrev_b32_e32 v0, 16, v1
	s_delay_alu instid0(VALU_DEP_4) | instskip(NEXT) | instid1(VALU_DEP_4)
	v_mul_f16_e32 v61, v59, v11
	v_fma_f16 v11, v225, v11, -v60
	v_lshrrev_b32_e32 v59, 16, v58
	s_delay_alu instid0(VALU_DEP_3) | instskip(SKIP_1) | instid1(VALU_DEP_3)
	v_fmac_f16_e64 v61, v225, v49
	v_lshrrev_b32_e32 v49, 16, v57
	v_mul_f16_e32 v66, v59, v50
	s_delay_alu instid0(VALU_DEP_2) | instskip(NEXT) | instid1(VALU_DEP_1)
	v_mul_f16_e32 v60, v49, v0
	v_fmac_f16_e32 v60, v57, v1
	v_mul_f16_e32 v1, v49, v1
	v_lshrrev_b32_e32 v49, 16, v50
	s_delay_alu instid0(VALU_DEP_2) | instskip(SKIP_3) | instid1(VALU_DEP_2)
	v_fma_f16 v57, v57, v0, -v1
	ds_load_2addr_b32 v[0:1], v149 offset0:120 offset1:220
	v_mul_f16_e32 v65, v59, v49
	v_lshrrev_b32_e32 v59, 16, v69
	v_fmac_f16_e32 v65, v58, v50
	v_fma_f16 v58, v58, v49, -v66
	s_waitcnt lgkmcnt(0)
	v_lshrrev_b32_e32 v49, 16, v0
	v_mul_f16_e32 v50, v59, v0
	s_delay_alu instid0(VALU_DEP_2) | instskip(NEXT) | instid1(VALU_DEP_2)
	v_mul_f16_e32 v66, v59, v49
	v_fma_f16 v67, v69, v49, -v50
	ds_load_2addr_b32 v[49:50], v136 offset0:96 offset1:196
	v_lshrrev_b32_e32 v59, 16, v70
	v_fmac_f16_e32 v66, v69, v0
	v_lshrrev_b32_e32 v0, 16, v1
	s_waitcnt lgkmcnt(0)
	v_lshrrev_b32_e32 v68, 16, v49
	v_mul_f16_e32 v71, v59, v49
	s_delay_alu instid0(VALU_DEP_2) | instskip(SKIP_1) | instid1(VALU_DEP_3)
	v_mul_f16_e32 v72, v59, v68
	v_lshrrev_b32_e32 v59, 16, v64
	v_fma_f16 v68, v70, v68, -v71
	s_delay_alu instid0(VALU_DEP_3) | instskip(SKIP_1) | instid1(VALU_DEP_4)
	v_fmac_f16_e32 v72, v70, v49
	v_lshrrev_b32_e32 v49, 16, v63
	v_mul_f16_e32 v71, v59, v50
	s_delay_alu instid0(VALU_DEP_2) | instskip(NEXT) | instid1(VALU_DEP_1)
	v_mul_f16_e32 v69, v49, v0
	v_fmac_f16_e32 v69, v63, v1
	v_mul_f16_e32 v1, v49, v1
	v_lshrrev_b32_e32 v49, 16, v50
	s_delay_alu instid0(VALU_DEP_2) | instskip(SKIP_3) | instid1(VALU_DEP_2)
	v_fma_f16 v63, v63, v0, -v1
	ds_load_2addr_b32 v[0:1], v84 offset0:64 offset1:164
	v_mul_f16_e32 v70, v59, v49
	v_lshrrev_b32_e32 v59, 16, v210
	v_fmac_f16_e32 v70, v64, v50
	v_fma_f16 v64, v64, v49, -v71
	s_waitcnt lgkmcnt(0)
	v_lshrrev_b32_e32 v49, 16, v0
	v_mul_f16_e32 v50, v59, v0
	s_delay_alu instid0(VALU_DEP_2) | instskip(NEXT) | instid1(VALU_DEP_2)
	v_mul_f16_e32 v71, v59, v49
	v_fma_f16 v73, v210, v49, -v50
	ds_load_2addr_b32 v[49:50], v119 offset0:40 offset1:140
	v_lshrrev_b32_e32 v59, 16, v211
	v_fmac_f16_e64 v71, v210, v0
	v_lshrrev_b32_e32 v0, 16, v1
	s_waitcnt lgkmcnt(0)
	v_lshrrev_b32_e32 v74, 16, v49
	v_mul_f16_e32 v75, v59, v49
	s_delay_alu instid0(VALU_DEP_2) | instskip(NEXT) | instid1(VALU_DEP_2)
	v_mul_f16_e32 v76, v59, v74
	v_fma_f16 v74, v211, v74, -v75
	v_mul_f16_e64 v75, v204, v0
	v_lshrrev_b32_e32 v59, 16, v56
	s_delay_alu instid0(VALU_DEP_4) | instskip(SKIP_1) | instid1(VALU_DEP_4)
	v_fmac_f16_e64 v76, v211, v49
	v_lshrrev_b32_e32 v49, 16, v50
	v_fmac_f16_e32 v75, v55, v1
	v_mul_f16_e64 v1, v204, v1
	v_mul_f16_e32 v78, v59, v50
	s_delay_alu instid0(VALU_DEP_4) | instskip(NEXT) | instid1(VALU_DEP_3)
	v_mul_f16_e32 v77, v59, v49
	v_fma_f16 v79, v55, v0, -v1
	ds_load_2addr_b32 v[0:1], v144 offset0:8 offset1:108
	v_fma_f16 v78, v56, v49, -v78
	v_fmac_f16_e32 v77, v56, v50
	s_waitcnt lgkmcnt(0)
	v_lshrrev_b32_e32 v49, 16, v0
	v_mul_f16_e64 v50, v198, v0
	s_delay_alu instid0(VALU_DEP_2) | instskip(NEXT) | instid1(VALU_DEP_2)
	v_mul_f16_e64 v59, v198, v49
	v_fma_f16 v80, v53, v49, -v50
	ds_load_2addr_b32 v[49:50], v97 offset0:112 offset1:212
	v_fmac_f16_e32 v59, v53, v0
	v_lshrrev_b32_e32 v0, 16, v1
	s_delay_alu instid0(VALU_DEP_1) | instskip(NEXT) | instid1(VALU_DEP_1)
	v_mul_f16_e64 v83, v212, v0
	v_fmac_f16_e32 v83, v51, v1
	v_mul_f16_e64 v1, v212, v1
	s_waitcnt lgkmcnt(0)
	v_lshrrev_b32_e32 v55, 16, v49
	v_mul_f16_e32 v56, v62, v49
	v_mul_f16_e64 v53, v194, v50
	s_delay_alu instid0(VALU_DEP_3)
	v_mul_f16_e32 v81, v62, v55
	v_fma_f16 v62, v51, v0, -v1
	ds_load_2addr_b32 v[0:1], v148 offset1:100
	v_fma_f16 v82, v54, v55, -v56
	v_fmac_f16_e32 v81, v54, v49
	v_lshrrev_b32_e32 v49, 16, v50
	s_delay_alu instid0(VALU_DEP_1) | instskip(SKIP_1) | instid1(VALU_DEP_2)
	v_mul_f16_e64 v86, v194, v49
	v_fma_f16 v87, v52, v49, -v53
	v_fmac_f16_e32 v86, v52, v50
	v_add_f16_e32 v50, v2, v3
	s_waitcnt lgkmcnt(0)
	v_lshrrev_b32_e32 v88, 16, v0
	s_delay_alu instid0(VALU_DEP_1) | instskip(SKIP_3) | instid1(VALU_DEP_4)
	v_add_f16_e32 v49, v88, v2
	v_sub_f16_e32 v2, v2, v3
	v_fmac_f16_e32 v88, -0.5, v50
	v_add_f16_e32 v50, v4, v6
	v_add_f16_e32 v3, v49, v3
	;; [unrolled: 1-line block ×3, first 2 shown]
	v_sub_f16_e32 v4, v4, v6
	s_delay_alu instid0(VALU_DEP_4) | instskip(NEXT) | instid1(VALU_DEP_3)
	v_fma_f16 v0, -0.5, v50, v0
	v_add_f16_e32 v49, v49, v6
	s_delay_alu instid0(VALU_DEP_2) | instskip(SKIP_2) | instid1(VALU_DEP_4)
	v_fmamk_f16 v6, v2, 0xbaee, v0
	v_fmac_f16_e32 v0, 0x3aee, v2
	v_lshrrev_b32_e32 v2, 16, v1
	v_pack_b32_f16 v3, v49, v3
	v_fmamk_f16 v49, v4, 0x3aee, v88
	v_fmac_f16_e32 v88, 0xbaee, v4
	s_delay_alu instid0(VALU_DEP_2)
	v_pack_b32_f16 v6, v6, v49
	ds_load_2addr_b32 v[49:50], v160 offset0:72 offset1:172
	ds_load_2addr_b32 v[51:52], v127 offset0:144 offset1:244
	;; [unrolled: 1-line block ×4, first 2 shown]
	s_waitcnt lgkmcnt(0)
	s_barrier
	buffer_gl0_inv
	scratch_load_b32 v84, off, off offset:248 ; 4-byte Folded Reload
	v_pack_b32_f16 v0, v0, v88
	s_waitcnt vmcnt(0)
	ds_store_b32 v84, v0 offset:80
	v_add_f16_e32 v0, v5, v8
	ds_store_2addr_b32 v84, v3, v6 offset1:10
	v_add_f16_e32 v3, v1, v5
	v_add_f16_e32 v6, v2, v10
	v_fmac_f16_e32 v1, -0.5, v0
	v_sub_f16_e32 v0, v10, v7
	s_delay_alu instid0(VALU_DEP_1) | instskip(SKIP_2) | instid1(VALU_DEP_1)
	v_fmamk_f16 v4, v0, 0xbaee, v1
	v_fmac_f16_e32 v1, 0x3aee, v0
	v_add_f16_e32 v0, v10, v7
	v_fmac_f16_e32 v2, -0.5, v0
	v_sub_f16_e32 v0, v5, v8
	s_delay_alu instid0(VALU_DEP_1) | instskip(SKIP_1) | instid1(VALU_DEP_1)
	v_fmamk_f16 v5, v0, 0x3aee, v2
	v_fmac_f16_e32 v2, 0xbaee, v0
	v_pack_b32_f16 v0, v1, v2
	v_add_f16_e32 v1, v3, v8
	scratch_load_b32 v3, off, off offset:252 ; 4-byte Folded Reload
	v_add_f16_e32 v2, v6, v7
	s_delay_alu instid0(VALU_DEP_1)
	v_pack_b32_f16 v1, v1, v2
	v_pack_b32_f16 v2, v4, v5
	s_waitcnt vmcnt(0)
	ds_store_2addr_b32 v3, v1, v2 offset1:10
	ds_store_b32 v3, v0 offset:80
	v_lshrrev_b32_e32 v0, 16, v49
	v_add_f16_e32 v2, v9, v11
	v_add_f16_e32 v4, v48, v61
	v_sub_f16_e32 v3, v9, v11
	v_sub_f16_e32 v5, v48, v61
	v_add_f16_e32 v1, v0, v9
	v_fmac_f16_e32 v0, -0.5, v2
	v_add_f16_e32 v2, v49, v48
	s_delay_alu instid0(VALU_DEP_3) | instskip(NEXT) | instid1(VALU_DEP_3)
	v_add_f16_e32 v1, v1, v11
	v_fmamk_f16 v6, v5, 0x3aee, v0
	s_delay_alu instid0(VALU_DEP_3) | instskip(SKIP_1) | instid1(VALU_DEP_2)
	v_add_f16_e32 v2, v2, v61
	v_fmac_f16_e32 v0, 0xbaee, v5
	v_pack_b32_f16 v1, v2, v1
	v_fma_f16 v2, -0.5, v4, v49
	s_delay_alu instid0(VALU_DEP_1) | instskip(SKIP_1) | instid1(VALU_DEP_2)
	v_fmamk_f16 v4, v3, 0xbaee, v2
	v_fmac_f16_e32 v2, 0x3aee, v3
	v_pack_b32_f16 v4, v4, v6
	scratch_load_b32 v6, off, off offset:256 ; 4-byte Folded Reload
	v_pack_b32_f16 v0, v2, v0
	v_add_f16_e32 v2, v50, v60
	s_waitcnt vmcnt(0)
	ds_store_b32 v6, v0 offset:80
	v_add_f16_e32 v0, v60, v65
	ds_store_2addr_b32 v6, v1, v4 offset1:10
	v_lshrrev_b32_e32 v1, 16, v50
	v_fmac_f16_e32 v50, -0.5, v0
	v_sub_f16_e32 v0, v57, v58
	s_delay_alu instid0(VALU_DEP_3) | instskip(NEXT) | instid1(VALU_DEP_2)
	v_add_f16_e32 v4, v1, v57
	v_fmamk_f16 v3, v0, 0xbaee, v50
	v_fmac_f16_e32 v50, 0x3aee, v0
	v_add_f16_e32 v0, v57, v58
	s_delay_alu instid0(VALU_DEP_1) | instskip(SKIP_1) | instid1(VALU_DEP_1)
	v_fmac_f16_e32 v1, -0.5, v0
	v_sub_f16_e32 v0, v60, v65
	v_fmamk_f16 v5, v0, 0x3aee, v1
	v_fmac_f16_e32 v1, 0xbaee, v0
	s_delay_alu instid0(VALU_DEP_1) | instskip(SKIP_3) | instid1(VALU_DEP_2)
	v_pack_b32_f16 v0, v50, v1
	v_add_f16_e32 v1, v2, v65
	v_add_f16_e32 v2, v4, v58
	v_add_f16_e32 v4, v66, v72
	v_pack_b32_f16 v1, v1, v2
	v_pack_b32_f16 v2, v3, v5
	scratch_load_b32 v3, off, off offset:260 ; 4-byte Folded Reload
	s_waitcnt vmcnt(0)
	ds_store_2addr_b32 v3, v1, v2 offset1:10
	ds_store_b32 v3, v0 offset:80
	v_lshrrev_b32_e32 v0, 16, v51
	v_add_f16_e32 v2, v67, v68
	v_sub_f16_e32 v3, v67, v68
	v_sub_f16_e32 v5, v66, v72
	s_delay_alu instid0(VALU_DEP_4) | instskip(NEXT) | instid1(VALU_DEP_4)
	v_add_f16_e32 v1, v0, v67
	v_fmac_f16_e32 v0, -0.5, v2
	v_add_f16_e32 v2, v51, v66
	s_delay_alu instid0(VALU_DEP_3) | instskip(NEXT) | instid1(VALU_DEP_3)
	v_add_f16_e32 v1, v1, v68
	v_fmamk_f16 v6, v5, 0x3aee, v0
	s_delay_alu instid0(VALU_DEP_3) | instskip(SKIP_1) | instid1(VALU_DEP_2)
	v_add_f16_e32 v2, v2, v72
	v_fmac_f16_e32 v0, 0xbaee, v5
	v_pack_b32_f16 v1, v2, v1
	v_fma_f16 v2, -0.5, v4, v51
	s_delay_alu instid0(VALU_DEP_1) | instskip(SKIP_1) | instid1(VALU_DEP_2)
	v_fmamk_f16 v4, v3, 0xbaee, v2
	v_fmac_f16_e32 v2, 0x3aee, v3
	v_pack_b32_f16 v4, v4, v6
	scratch_load_b32 v6, off, off offset:264 ; 4-byte Folded Reload
	v_pack_b32_f16 v0, v2, v0
	v_add_f16_e32 v2, v52, v69
	s_waitcnt vmcnt(0)
	ds_store_b32 v6, v0 offset:80
	v_add_f16_e32 v0, v69, v70
	ds_store_2addr_b32 v6, v1, v4 offset1:10
	v_lshrrev_b32_e32 v1, 16, v52
	v_fmac_f16_e32 v52, -0.5, v0
	v_sub_f16_e32 v0, v63, v64
	s_delay_alu instid0(VALU_DEP_3) | instskip(NEXT) | instid1(VALU_DEP_2)
	v_add_f16_e32 v4, v1, v63
	v_fmamk_f16 v3, v0, 0xbaee, v52
	v_fmac_f16_e32 v52, 0x3aee, v0
	v_add_f16_e32 v0, v63, v64
	s_delay_alu instid0(VALU_DEP_1) | instskip(SKIP_1) | instid1(VALU_DEP_1)
	v_fmac_f16_e32 v1, -0.5, v0
	v_sub_f16_e32 v0, v69, v70
	v_fmamk_f16 v5, v0, 0x3aee, v1
	v_fmac_f16_e32 v1, 0xbaee, v0
	s_delay_alu instid0(VALU_DEP_1) | instskip(SKIP_3) | instid1(VALU_DEP_2)
	v_pack_b32_f16 v0, v52, v1
	v_add_f16_e32 v1, v2, v70
	v_add_f16_e32 v2, v4, v64
	v_add_f16_e32 v4, v71, v76
	v_pack_b32_f16 v1, v1, v2
	v_pack_b32_f16 v2, v3, v5
	scratch_load_b32 v3, off, off offset:268 ; 4-byte Folded Reload
	s_waitcnt vmcnt(0)
	ds_store_2addr_b32 v3, v1, v2 offset1:10
	ds_store_b32 v3, v0 offset:80
	v_lshrrev_b32_e32 v0, 16, v53
	v_add_f16_e32 v2, v73, v74
	v_sub_f16_e32 v3, v73, v74
	v_sub_f16_e32 v5, v71, v76
	s_delay_alu instid0(VALU_DEP_4) | instskip(NEXT) | instid1(VALU_DEP_4)
	;; [unrolled: 51-line block ×3, first 2 shown]
	v_add_f16_e32 v1, v0, v80
	v_fmac_f16_e32 v0, -0.5, v2
	v_add_f16_e32 v2, v55, v59
	s_delay_alu instid0(VALU_DEP_3) | instskip(NEXT) | instid1(VALU_DEP_3)
	v_add_f16_e32 v1, v1, v82
	v_fmamk_f16 v6, v5, 0x3aee, v0
	s_delay_alu instid0(VALU_DEP_3) | instskip(SKIP_1) | instid1(VALU_DEP_2)
	v_add_f16_e32 v2, v2, v81
	v_fmac_f16_e32 v0, 0xbaee, v5
	v_pack_b32_f16 v1, v2, v1
	v_fma_f16 v2, -0.5, v4, v55
	s_delay_alu instid0(VALU_DEP_1) | instskip(SKIP_1) | instid1(VALU_DEP_2)
	v_fmamk_f16 v4, v3, 0xbaee, v2
	v_fmac_f16_e32 v2, 0x3aee, v3
	v_pack_b32_f16 v4, v4, v6
	scratch_load_b32 v6, off, off offset:284 ; 4-byte Folded Reload
	v_pack_b32_f16 v0, v2, v0
	v_add_f16_e32 v2, v56, v83
	s_waitcnt vmcnt(0)
	ds_store_b32 v6, v0 offset:80
	v_add_f16_e32 v0, v83, v86
	ds_store_2addr_b32 v6, v1, v4 offset1:10
	v_lshrrev_b32_e32 v1, 16, v56
	v_fmac_f16_e32 v56, -0.5, v0
	v_sub_f16_e32 v0, v62, v87
	s_delay_alu instid0(VALU_DEP_3) | instskip(NEXT) | instid1(VALU_DEP_2)
	v_add_f16_e32 v4, v1, v62
	v_fmamk_f16 v3, v0, 0xbaee, v56
	v_fmac_f16_e32 v56, 0x3aee, v0
	v_add_f16_e32 v0, v62, v87
	s_delay_alu instid0(VALU_DEP_1) | instskip(SKIP_1) | instid1(VALU_DEP_1)
	v_fmac_f16_e32 v1, -0.5, v0
	v_sub_f16_e32 v0, v83, v86
	v_fmamk_f16 v5, v0, 0x3aee, v1
	v_fmac_f16_e32 v1, 0xbaee, v0
	s_delay_alu instid0(VALU_DEP_1) | instskip(SKIP_2) | instid1(VALU_DEP_1)
	v_pack_b32_f16 v0, v56, v1
	v_add_f16_e32 v1, v2, v86
	v_add_f16_e32 v2, v4, v87
	v_pack_b32_f16 v1, v1, v2
	v_pack_b32_f16 v2, v3, v5
	scratch_load_b32 v3, off, off offset:280 ; 4-byte Folded Reload
	s_waitcnt vmcnt(0)
	ds_store_2addr_b32 v3, v1, v2 offset1:10
	ds_store_b32 v3, v0 offset:80
	s_waitcnt lgkmcnt(0)
	s_barrier
	buffer_gl0_inv
	ds_load_2addr_b32 v[49:50], v160 offset0:72 offset1:172
	ds_load_2addr_b32 v[60:61], v157 offset0:32 offset1:132
	;; [unrolled: 1-line block ×4, first 2 shown]
	s_waitcnt lgkmcnt(3)
	v_lshrrev_b32_e32 v0, 16, v50
	v_mul_f16_e64 v1, v242, v50
	s_waitcnt lgkmcnt(1)
	v_lshrrev_b32_e32 v4, 16, v53
	v_mul_f16_e64 v5, v243, v53
	v_mul_f16_e64 v56, v242, v0
	v_fma_f16 v57, v24, v0, -v1
	ds_load_2addr_b32 v[0:1], v128 offset0:88 offset1:188
	v_mul_f16_e64 v54, v243, v4
	v_fmac_f16_e32 v56, v24, v50
	s_delay_alu instid0(VALU_DEP_2) | instskip(SKIP_4) | instid1(VALU_DEP_2)
	v_fmac_f16_e32 v54, v35, v53
	v_fma_f16 v35, v35, v4, -v5
	s_waitcnt lgkmcnt(0)
	v_lshrrev_b32_e32 v2, 16, v0
	v_mul_f16_e64 v3, v248, v0
	v_mul_f16_e64 v67, v248, v2
	s_delay_alu instid0(VALU_DEP_2) | instskip(SKIP_2) | instid1(VALU_DEP_4)
	v_fma_f16 v65, v25, v2, -v3
	v_lshrrev_b32_e32 v2, 16, v61
	v_mul_f16_e64 v3, v239, v61
	v_fmac_f16_e32 v67, v25, v0
	s_delay_alu instid0(VALU_DEP_3) | instskip(NEXT) | instid1(VALU_DEP_3)
	v_mul_f16_e64 v63, v239, v2
	v_fma_f16 v59, v26, v2, -v3
	v_lshrrev_b32_e32 v2, 16, v52
	v_mul_f16_e64 v3, v249, v52
	s_delay_alu instid0(VALU_DEP_4)
	v_fmac_f16_e32 v63, v26, v61
	ds_load_2addr_b32 v[61:62], v136 offset0:96 offset1:196
	v_mul_f16_e64 v69, v249, v2
	v_fma_f16 v68, v27, v2, -v3
	v_lshrrev_b32_e32 v2, 16, v1
	v_mul_f16_e64 v3, v241, v1
	v_add_f16_e32 v11, v57, v59
	v_fmac_f16_e32 v69, v27, v52
	ds_load_2addr_b32 v[26:27], v186 offset0:104 offset1:204
	v_mul_f16_e64 v52, v241, v2
	v_fma_f16 v55, v33, v2, -v3
	s_delay_alu instid0(VALU_DEP_2)
	v_fmac_f16_e32 v52, v33, v1
	ds_load_2addr_b32 v[0:1], v127 offset0:144 offset1:244
	s_waitcnt lgkmcnt(2)
	v_mul_f16_e64 v8, v232, v62
	s_waitcnt lgkmcnt(1)
	v_lshrrev_b32_e32 v2, 16, v26
	v_mul_f16_e64 v3, v238, v26
	s_delay_alu instid0(VALU_DEP_2) | instskip(NEXT) | instid1(VALU_DEP_2)
	v_mul_f16_e64 v53, v238, v2
	v_fma_f16 v33, v34, v2, -v3
	s_waitcnt lgkmcnt(0)
	v_lshrrev_b32_e32 v6, 16, v0
	v_mul_f16_e64 v7, v235, v0
	v_lshrrev_b32_e32 v2, 16, v60
	v_lshrrev_b32_e32 v3, 16, v207
	v_fmac_f16_e32 v53, v34, v26
	v_mul_f16_e64 v50, v235, v6
	v_fma_f16 v51, v32, v6, -v7
	v_lshrrev_b32_e32 v6, 16, v27
	v_mul_f16_e32 v25, v3, v2
	v_mul_f16_e32 v3, v3, v60
	v_fmac_f16_e32 v50, v32, v0
	v_lshrrev_b32_e32 v0, 16, v1
	v_mul_f16_e64 v26, v143, v6
	v_mul_f16_e64 v7, v143, v27
	v_fma_f16 v5, v207, v2, -v3
	v_fmac_f16_e64 v25, v207, v60
	v_mul_f16_e64 v24, v147, v0
	v_fmac_f16_e64 v26, v208, v27
	v_fma_f16 v27, v208, v6, -v7
	v_lshrrev_b32_e32 v6, 16, v209
	v_lshrrev_b32_e32 v7, 16, v62
	v_fmac_f16_e64 v24, v206, v1
	v_mul_f16_e64 v1, v147, v1
	s_delay_alu instid0(VALU_DEP_3) | instskip(NEXT) | instid1(VALU_DEP_2)
	v_mul_f16_e64 v64, v232, v7
	v_fma_f16 v4, v206, v0, -v1
	ds_load_2addr_b32 v[0:1], v149 offset0:120 offset1:220
	v_fmac_f16_e32 v64, v23, v62
	v_fma_f16 v23, v23, v7, -v8
	s_waitcnt lgkmcnt(0)
	v_lshrrev_b32_e32 v2, 16, v0
	v_mul_f16_e32 v3, v6, v0
	s_delay_alu instid0(VALU_DEP_2) | instskip(NEXT) | instid1(VALU_DEP_2)
	v_mul_f16_e32 v32, v6, v2
	v_fma_f16 v6, v209, v2, -v3
	v_mul_f16_e32 v2, v106, v1
	s_delay_alu instid0(VALU_DEP_3) | instskip(SKIP_1) | instid1(VALU_DEP_1)
	v_fmac_f16_e64 v32, v209, v0
	v_lshrrev_b32_e32 v0, 16, v1
	v_mul_f16_e32 v72, v106, v0
	s_delay_alu instid0(VALU_DEP_4) | instskip(NEXT) | instid1(VALU_DEP_2)
	v_fma_f16 v70, v16, v0, -v2
	v_fmac_f16_e32 v72, v16, v1
	ds_load_2addr_b32 v[0:1], v144 offset0:8 offset1:108
	v_add_f16_e32 v11, v11, v70
	s_waitcnt lgkmcnt(0)
	v_lshrrev_b32_e32 v2, 16, v0
	v_mul_f16_e64 v3, v231, v0
	s_delay_alu instid0(VALU_DEP_2) | instskip(NEXT) | instid1(VALU_DEP_2)
	v_mul_f16_e64 v75, v231, v2
	v_fma_f16 v74, v17, v2, -v3
	v_lshrrev_b32_e32 v2, 16, v79
	v_mul_f16_e32 v3, v109, v79
	s_delay_alu instid0(VALU_DEP_4) | instskip(NEXT) | instid1(VALU_DEP_4)
	v_fmac_f16_e32 v75, v17, v0
	v_add_f16_e32 v97, v68, v74
	s_delay_alu instid0(VALU_DEP_4) | instskip(NEXT) | instid1(VALU_DEP_4)
	v_mul_f16_e32 v73, v109, v2
	v_fma_f16 v71, v18, v2, -v3
	v_lshrrev_b32_e32 v2, 16, v61
	v_mul_f16_e64 v3, v233, v61
	v_sub_f16_e32 v48, v68, v74
	v_fmac_f16_e32 v73, v18, v79
	v_sub_f16_e32 v87, v70, v71
	v_mul_f16_e64 v77, v233, v2
	v_fma_f16 v76, v19, v2, -v3
	v_lshrrev_b32_e32 v2, 16, v1
	v_mul_f16_e64 v3, v230, v1
	v_sub_f16_e32 v86, v72, v73
	v_fmac_f16_e32 v77, v19, v61
	ds_load_2addr_b32 v[18:19], v183 offset0:152 offset1:252
	v_mul_f16_e64 v61, v230, v2
	v_fma_f16 v66, v21, v2, -v3
	v_add_f16_e32 v11, v11, v71
	v_sub_f16_e32 v101, v67, v77
	v_sub_f16_e32 v103, v69, v75
	v_fmac_f16_e32 v61, v21, v1
	ds_load_2addr_b32 v[0:1], v108 offset0:64 offset1:164
	s_waitcnt lgkmcnt(1)
	v_lshrrev_b32_e32 v2, 16, v18
	v_lshrrev_b32_e32 v8, 16, v19
	v_mul_f16_e64 v3, v228, v18
	s_delay_alu instid0(VALU_DEP_3)
	v_mul_f16_e64 v62, v228, v2
	s_waitcnt lgkmcnt(0)
	v_lshrrev_b32_e32 v9, 16, v0
	v_mul_f16_e64 v10, v227, v0
	v_fma_f16 v58, v22, v2, -v3
	v_fmac_f16_e32 v62, v22, v18
	v_mul_f16_e64 v18, v154, v8
	v_mul_f16_e64 v60, v227, v9
	v_fma_f16 v34, v20, v9, -v10
	v_mul_f16_e64 v9, v154, v19
	v_lshrrev_b32_e32 v2, 16, v78
	v_fmac_f16_e64 v18, v215, v19
	v_fmac_f16_e32 v60, v20, v0
	v_lshrrev_b32_e32 v0, 16, v1
	v_lshrrev_b32_e32 v3, 16, v214
	v_fma_f16 v20, v215, v8, -v9
	v_lshrrev_b32_e32 v8, 16, v216
	v_add_f16_e32 v10, v56, v63
	v_mul_f16_e64 v7, v156, v0
	v_mul_f16_e32 v17, v3, v2
	v_mul_f16_e32 v3, v3, v78
	s_delay_alu instid0(VALU_DEP_4) | instskip(NEXT) | instid1(VALU_DEP_4)
	v_add_f16_e32 v10, v10, v72
	v_fmac_f16_e64 v7, v213, v1
	v_mul_f16_e64 v1, v156, v1
	s_delay_alu instid0(VALU_DEP_4) | instskip(SKIP_2) | instid1(VALU_DEP_4)
	v_fma_f16 v16, v214, v2, -v3
	v_fmac_f16_e64 v17, v214, v78
	v_add_f16_e32 v10, v10, v73
	v_fma_f16 v19, v213, v0, -v1
	ds_load_2addr_b32 v[0:1], v119 offset0:40 offset1:140
	s_waitcnt lgkmcnt(0)
	v_lshrrev_b32_e32 v2, 16, v0
	v_mul_f16_e32 v3, v8, v0
	s_delay_alu instid0(VALU_DEP_2) | instskip(NEXT) | instid1(VALU_DEP_2)
	v_mul_f16_e32 v21, v8, v2
	v_fma_f16 v2, v216, v2, -v3
	v_mul_f16_e64 v3, v223, v1
	s_delay_alu instid0(VALU_DEP_3) | instskip(SKIP_1) | instid1(VALU_DEP_1)
	v_fmac_f16_e64 v21, v216, v0
	v_lshrrev_b32_e32 v0, 16, v1
	v_mul_f16_e64 v78, v223, v0
	s_delay_alu instid0(VALU_DEP_4) | instskip(SKIP_1) | instid1(VALU_DEP_3)
	v_fma_f16 v22, v222, v0, -v3
	v_sub_f16_e32 v0, v67, v69
	v_fmac_f16_e64 v78, v222, v1
	v_sub_f16_e32 v1, v77, v75
	s_delay_alu instid0(VALU_DEP_4) | instskip(SKIP_1) | instid1(VALU_DEP_4)
	v_sub_f16_e32 v89, v59, v22
	v_add_f16_e32 v96, v11, v22
	v_sub_f16_e32 v88, v63, v78
	s_delay_alu instid0(VALU_DEP_4) | instskip(SKIP_4) | instid1(VALU_DEP_3)
	v_add_f16_e32 v3, v0, v1
	v_sub_f16_e32 v0, v65, v68
	v_sub_f16_e32 v1, v76, v74
	v_add_f16_e32 v95, v10, v78
	v_sub_f16_e32 v10, v65, v76
	v_add_f16_e32 v79, v0, v1
	v_sub_f16_e32 v0, v63, v72
	v_sub_f16_e32 v1, v78, v73
	s_delay_alu instid0(VALU_DEP_1) | instskip(SKIP_2) | instid1(VALU_DEP_1)
	v_add_f16_e32 v80, v0, v1
	v_sub_f16_e32 v0, v59, v70
	v_sub_f16_e32 v1, v22, v71
	v_add_f16_e32 v83, v0, v1
	v_add_f16_e32 v0, v72, v73
	s_delay_alu instid0(VALU_DEP_1) | instskip(SKIP_1) | instid1(VALU_DEP_2)
	v_fma_f16 v81, -0.5, v0, v56
	v_add_f16_e32 v0, v70, v71
	v_fmamk_f16 v1, v89, 0xbb9c, v81
	s_delay_alu instid0(VALU_DEP_2) | instskip(SKIP_1) | instid1(VALU_DEP_3)
	v_fma_f16 v82, -0.5, v0, v57
	v_fmac_f16_e32 v81, 0x3b9c, v89
	v_fmac_f16_e32 v1, 0xb8b4, v87
	s_delay_alu instid0(VALU_DEP_3) | instskip(SKIP_1) | instid1(VALU_DEP_4)
	v_fmamk_f16 v0, v88, 0x3b9c, v82
	v_fmac_f16_e32 v82, 0xbb9c, v88
	v_fmac_f16_e32 v81, 0x38b4, v87
	s_delay_alu instid0(VALU_DEP_4) | instskip(NEXT) | instid1(VALU_DEP_4)
	v_fmac_f16_e32 v1, 0x34f2, v80
	v_fmac_f16_e32 v0, 0x38b4, v86
	s_delay_alu instid0(VALU_DEP_4) | instskip(NEXT) | instid1(VALU_DEP_4)
	v_fmac_f16_e32 v82, 0xb8b4, v86
	v_fmac_f16_e32 v81, 0x34f2, v80
	s_delay_alu instid0(VALU_DEP_3) | instskip(NEXT) | instid1(VALU_DEP_3)
	v_fmac_f16_e32 v0, 0x34f2, v83
	v_fmac_f16_e32 v82, 0x34f2, v83
	s_delay_alu instid0(VALU_DEP_2) | instskip(SKIP_1) | instid1(VALU_DEP_2)
	v_mul_f16_e32 v90, 0xb8b4, v0
	v_mul_f16_e32 v92, 0x3a79, v0
	v_fmac_f16_e32 v90, 0x3a79, v1
	s_delay_alu instid0(VALU_DEP_2) | instskip(SKIP_4) | instid1(VALU_DEP_2)
	v_fmac_f16_e32 v92, 0x38b4, v1
	ds_load_2addr_b32 v[0:1], v148 offset1:100
	s_waitcnt lgkmcnt(0)
	v_lshrrev_b32_e32 v91, 16, v0
	v_add_f16_e32 v8, v0, v67
	v_add_f16_e32 v9, v91, v65
	s_delay_alu instid0(VALU_DEP_2) | instskip(SKIP_1) | instid1(VALU_DEP_3)
	v_add_f16_e32 v8, v8, v69
	v_fma_f16 v97, -0.5, v97, v91
	v_add_f16_e32 v9, v9, v68
	s_delay_alu instid0(VALU_DEP_3) | instskip(NEXT) | instid1(VALU_DEP_3)
	v_add_f16_e32 v8, v8, v75
	v_fmamk_f16 v102, v101, 0x3b9c, v97
	v_sub_f16_e32 v68, v68, v65
	v_add_f16_e32 v65, v65, v76
	v_add_f16_e32 v9, v9, v74
	;; [unrolled: 1-line block ×3, first 2 shown]
	v_fmac_f16_e32 v102, 0x38b4, v103
	v_fmac_f16_e32 v97, 0xbb9c, v101
	v_fmac_f16_e32 v91, -0.5, v65
	v_add_f16_e32 v94, v9, v76
	v_add_f16_e32 v8, v93, v95
	v_fmac_f16_e32 v102, 0x34f2, v79
	v_sub_f16_e32 v65, v72, v63
	v_add_f16_e32 v63, v63, v78
	v_add_f16_e32 v9, v94, v96
	v_fmac_f16_e32 v97, 0xb8b4, v103
	v_add_f16_e32 v100, v102, v92
	v_add_f16_e32 v72, v51, v33
	v_fmac_f16_e32 v56, -0.5, v63
	v_pack_b32_f16 v8, v8, v9
	v_add_f16_e32 v9, v69, v75
	v_add_f16_e32 v63, v59, v22
	v_sub_f16_e32 v59, v70, v59
	v_sub_f16_e32 v22, v71, v22
	v_fmac_f16_e32 v97, 0x34f2, v79
	v_fma_f16 v9, -0.5, v9, v0
	v_fmac_f16_e32 v57, -0.5, v63
	v_fmamk_f16 v63, v87, 0x3b9c, v56
	v_fmac_f16_e32 v56, 0xbb9c, v87
	v_add_f16_e32 v71, v50, v53
	v_fmamk_f16 v11, v10, 0xbb9c, v9
	v_fmac_f16_e32 v9, 0x3b9c, v10
	v_fmac_f16_e32 v63, 0xb8b4, v89
	;; [unrolled: 1-line block ×3, first 2 shown]
	v_add_f16_e32 v71, v71, v60
	v_fmac_f16_e32 v11, 0xb8b4, v48
	v_fmac_f16_e32 v9, 0x38b4, v48
	v_add_f16_e32 v72, v72, v34
	v_sub_f16_e32 v79, v52, v64
	v_add_f16_e32 v71, v71, v62
	v_fmac_f16_e32 v11, 0x34f2, v3
	v_fmac_f16_e32 v9, 0x34f2, v3
	v_mul_f16_e32 v3, 0xb8b4, v82
	v_add_f16_e32 v72, v72, v58
	s_delay_alu instid0(VALU_DEP_4) | instskip(SKIP_1) | instid1(VALU_DEP_4)
	v_add_f16_e32 v99, v11, v90
	v_sub_f16_e32 v11, v11, v90
	v_fmac_f16_e32 v3, 0xba79, v81
	s_delay_alu instid0(VALU_DEP_3)
	v_pack_b32_f16 v104, v99, v100
	ds_load_2addr_b32 v[99:100], v107 offset0:112 offset1:212
	s_waitcnt lgkmcnt(0)
	s_barrier
	buffer_gl0_inv
	ds_store_2addr_b32 v190, v8, v104 offset1:30
	v_sub_f16_e32 v8, v69, v67
	v_add_f16_e32 v67, v67, v77
	v_sub_f16_e32 v69, v75, v77
	v_sub_f16_e32 v77, v35, v66
	;; [unrolled: 1-line block ×3, first 2 shown]
	s_delay_alu instid0(VALU_DEP_4) | instskip(NEXT) | instid1(VALU_DEP_4)
	v_fma_f16 v0, -0.5, v67, v0
	v_add_f16_e32 v8, v8, v69
	v_sub_f16_e32 v69, v74, v76
	s_delay_alu instid0(VALU_DEP_3) | instskip(SKIP_2) | instid1(VALU_DEP_3)
	v_fmamk_f16 v67, v48, 0x3b9c, v0
	v_fmac_f16_e32 v0, 0xbb9c, v48
	v_sub_f16_e32 v48, v93, v95
	v_fmac_f16_e32 v67, 0xb8b4, v10
	s_delay_alu instid0(VALU_DEP_3) | instskip(SKIP_1) | instid1(VALU_DEP_3)
	v_fmac_f16_e32 v0, 0x38b4, v10
	v_mul_f16_e32 v10, 0xba79, v82
	v_fmac_f16_e32 v67, 0x34f2, v8
	s_delay_alu instid0(VALU_DEP_3)
	v_fmac_f16_e32 v0, 0x34f2, v8
	v_add_f16_e32 v8, v68, v69
	v_fmamk_f16 v69, v103, 0xbb9c, v91
	v_fmac_f16_e32 v91, 0x3b9c, v103
	v_sub_f16_e32 v68, v73, v78
	v_fmac_f16_e32 v10, 0x38b4, v81
	v_sub_f16_e32 v81, v54, v61
	v_fmac_f16_e32 v69, 0x38b4, v101
	v_fmac_f16_e32 v91, 0xb8b4, v101
	v_add_f16_e32 v78, v35, v66
	s_delay_alu instid0(VALU_DEP_3) | instskip(NEXT) | instid1(VALU_DEP_3)
	v_fmac_f16_e32 v69, 0x34f2, v8
	v_fmac_f16_e32 v91, 0x34f2, v8
	v_add_f16_e32 v8, v65, v68
	s_delay_alu instid0(VALU_DEP_1) | instskip(SKIP_4) | instid1(VALU_DEP_2)
	v_fmac_f16_e32 v63, 0x34f2, v8
	v_fmac_f16_e32 v56, 0x34f2, v8
	v_add_f16_e32 v8, v59, v22
	v_fmamk_f16 v22, v86, 0xbb9c, v57
	v_fmac_f16_e32 v57, 0x3b9c, v86
	v_fmac_f16_e32 v22, 0x38b4, v88
	s_delay_alu instid0(VALU_DEP_2) | instskip(NEXT) | instid1(VALU_DEP_2)
	v_fmac_f16_e32 v57, 0xb8b4, v88
	v_fmac_f16_e32 v22, 0x34f2, v8
	s_delay_alu instid0(VALU_DEP_2) | instskip(NEXT) | instid1(VALU_DEP_2)
	v_fmac_f16_e32 v57, 0x34f2, v8
	v_mul_f16_e32 v8, 0xbb9c, v22
	v_mul_f16_e32 v22, 0x34f2, v22
	s_delay_alu instid0(VALU_DEP_3) | instskip(SKIP_1) | instid1(VALU_DEP_4)
	v_mul_f16_e32 v59, 0xbb9c, v57
	v_mul_f16_e32 v57, 0xb4f2, v57
	v_fmac_f16_e32 v8, 0x34f2, v63
	s_delay_alu instid0(VALU_DEP_4) | instskip(NEXT) | instid1(VALU_DEP_4)
	v_fmac_f16_e32 v22, 0x3b9c, v63
	v_fmac_f16_e32 v59, 0xb4f2, v56
	s_delay_alu instid0(VALU_DEP_4) | instskip(NEXT) | instid1(VALU_DEP_4)
	v_fmac_f16_e32 v57, 0x3b9c, v56
	v_add_f16_e32 v56, v67, v8
	s_delay_alu instid0(VALU_DEP_4) | instskip(SKIP_1) | instid1(VALU_DEP_4)
	v_add_f16_e32 v63, v69, v22
	v_sub_f16_e32 v8, v67, v8
	v_add_f16_e32 v65, v91, v57
	v_sub_f16_e32 v22, v69, v22
	v_sub_f16_e32 v67, v34, v58
	v_pack_b32_f16 v56, v56, v63
	v_add_f16_e32 v63, v0, v59
	v_sub_f16_e32 v0, v0, v59
	v_pack_b32_f16 v8, v8, v22
	v_sub_f16_e32 v59, v60, v62
	v_lshrrev_b32_e32 v69, 16, v1
	v_pack_b32_f16 v63, v63, v65
	v_add_f16_e32 v65, v97, v10
	s_delay_alu instid0(VALU_DEP_3)
	v_add_f16_e32 v70, v69, v55
	ds_store_2addr_b32 v190, v56, v63 offset0:60 offset1:90
	v_sub_f16_e32 v56, v94, v96
	v_add_f16_e32 v63, v9, v3
	v_sub_f16_e32 v3, v9, v3
	v_sub_f16_e32 v9, v97, v10
	;; [unrolled: 1-line block ×3, first 2 shown]
	v_pack_b32_f16 v48, v48, v56
	v_pack_b32_f16 v63, v63, v65
	v_add_f16_e32 v70, v70, v35
	v_pack_b32_f16 v3, v3, v9
	v_sub_f16_e32 v9, v64, v61
	v_fma_f16 v78, -0.5, v78, v69
	ds_store_2addr_b32 v190, v63, v48 offset0:120 offset1:150
	v_sub_f16_e32 v48, v102, v92
	v_add_f16_e32 v70, v70, v66
	v_fmamk_f16 v80, v79, 0x3b9c, v78
	v_fmac_f16_e32 v78, 0xbb9c, v79
	s_delay_alu instid0(VALU_DEP_4)
	v_pack_b32_f16 v11, v11, v48
	v_add_f16_e32 v48, v34, v58
	v_add_f16_e32 v70, v70, v23
	v_fmac_f16_e32 v80, 0x38b4, v81
	v_fmac_f16_e32 v78, 0xb8b4, v81
	ds_store_2addr_b32 v190, v11, v8 offset0:180 offset1:210
	v_sub_f16_e32 v8, v91, v57
	v_fma_f16 v48, -0.5, v48, v51
	s_delay_alu instid0(VALU_DEP_2)
	v_pack_b32_f16 v0, v0, v8
	scratch_load_b32 v8, off, off offset:296 ; 4-byte Folded Reload
	s_waitcnt vmcnt(0)
	ds_store_2addr_b32 v8, v0, v3 offset0:112 offset1:142
	v_lshrrev_b32_e32 v8, 16, v179
	v_lshrrev_b32_e32 v0, 16, v99
	s_delay_alu instid0(VALU_DEP_2) | instskip(NEXT) | instid1(VALU_DEP_2)
	v_mul_f16_e32 v3, v8, v99
	v_mul_f16_e32 v8, v8, v0
	s_delay_alu instid0(VALU_DEP_2) | instskip(SKIP_1) | instid1(VALU_DEP_3)
	v_fma_f16 v0, v179, v0, -v3
	v_sub_f16_e32 v3, v52, v54
	v_fmac_f16_e64 v8, v179, v99
	s_delay_alu instid0(VALU_DEP_3) | instskip(NEXT) | instid1(VALU_DEP_3)
	v_sub_f16_e32 v22, v0, v58
	v_add_f16_e32 v3, v3, v9
	v_sub_f16_e32 v9, v55, v35
	s_delay_alu instid0(VALU_DEP_4)
	v_sub_f16_e32 v11, v8, v62
	v_sub_f16_e32 v56, v53, v8
	;; [unrolled: 1-line block ×3, first 2 shown]
	v_add_f16_e32 v71, v71, v8
	v_add_f16_e32 v9, v9, v10
	v_sub_f16_e32 v10, v53, v60
	v_fmamk_f16 v57, v56, 0x3b9c, v48
	v_add_f16_e32 v72, v72, v0
	v_sub_f16_e32 v35, v35, v55
	v_fmac_f16_e32 v48, 0xbb9c, v56
	v_add_f16_e32 v10, v10, v11
	v_sub_f16_e32 v11, v33, v34
	v_fmac_f16_e32 v57, 0x38b4, v59
	v_add_f16_e32 v74, v70, v72
	v_fmac_f16_e32 v48, 0xb8b4, v59
	v_fmac_f16_e32 v80, 0x34f2, v9
	v_add_f16_e32 v11, v11, v22
	v_add_f16_e32 v22, v60, v62
	v_fmac_f16_e32 v78, 0x34f2, v9
	s_delay_alu instid0(VALU_DEP_3) | instskip(NEXT) | instid1(VALU_DEP_3)
	v_fmac_f16_e32 v57, 0x34f2, v11
	v_fma_f16 v22, -0.5, v22, v50
	v_fmac_f16_e32 v48, 0x34f2, v11
	v_sub_f16_e32 v11, v70, v72
	s_delay_alu instid0(VALU_DEP_4) | instskip(NEXT) | instid1(VALU_DEP_4)
	v_mul_f16_e32 v68, 0xb8b4, v57
	v_fmamk_f16 v65, v63, 0xbb9c, v22
	v_mul_f16_e32 v57, 0x3a79, v57
	v_fmac_f16_e32 v22, 0x3b9c, v63
	v_mul_f16_e32 v9, 0xba79, v48
	s_delay_alu instid0(VALU_DEP_4) | instskip(NEXT) | instid1(VALU_DEP_3)
	v_fmac_f16_e32 v65, 0xb8b4, v67
	v_fmac_f16_e32 v22, 0x38b4, v67
	s_delay_alu instid0(VALU_DEP_2) | instskip(NEXT) | instid1(VALU_DEP_2)
	v_fmac_f16_e32 v65, 0x34f2, v10
	v_fmac_f16_e32 v22, 0x34f2, v10
	s_delay_alu instid0(VALU_DEP_2) | instskip(SKIP_2) | instid1(VALU_DEP_4)
	v_fmac_f16_e32 v68, 0x3a79, v65
	v_fmac_f16_e32 v57, 0x38b4, v65
	v_add_f16_e32 v65, v1, v52
	v_fmac_f16_e32 v9, 0x38b4, v22
	s_delay_alu instid0(VALU_DEP_3) | instskip(NEXT) | instid1(VALU_DEP_3)
	v_add_f16_e32 v83, v80, v57
	v_add_f16_e32 v65, v65, v54
	s_delay_alu instid0(VALU_DEP_1) | instskip(NEXT) | instid1(VALU_DEP_1)
	v_add_f16_e32 v65, v65, v61
	v_add_f16_e32 v65, v65, v64
	s_delay_alu instid0(VALU_DEP_1) | instskip(SKIP_1) | instid1(VALU_DEP_2)
	v_add_f16_e32 v73, v65, v71
	v_sub_f16_e32 v10, v65, v71
	v_pack_b32_f16 v73, v73, v74
	v_add_f16_e32 v74, v54, v61
	v_sub_f16_e32 v54, v54, v52
	v_add_f16_e32 v52, v52, v64
	v_sub_f16_e32 v61, v61, v64
	v_pack_b32_f16 v10, v10, v11
	v_fma_f16 v74, -0.5, v74, v1
	v_sub_f16_e32 v11, v80, v57
	v_fmac_f16_e32 v1, -0.5, v52
	v_add_f16_e32 v52, v54, v61
	v_add_f16_e32 v54, v55, v23
	v_sub_f16_e32 v23, v66, v23
	v_fmamk_f16 v76, v75, 0xbb9c, v74
	v_fmamk_f16 v55, v77, 0x3b9c, v1
	v_fmac_f16_e32 v1, 0xbb9c, v77
	v_fmac_f16_e32 v69, -0.5, v54
	v_add_f16_e32 v23, v35, v23
	v_sub_f16_e32 v35, v60, v53
	v_fmac_f16_e32 v55, 0xb8b4, v75
	v_fmac_f16_e32 v1, 0x38b4, v75
	;; [unrolled: 1-line block ×4, first 2 shown]
	v_lshrrev_b32_e32 v54, 16, v49
	v_fmac_f16_e32 v55, 0x34f2, v52
	v_fmac_f16_e32 v1, 0x34f2, v52
	v_add_f16_e32 v52, v53, v8
	v_fmamk_f16 v53, v81, 0xbb9c, v69
	v_fmac_f16_e32 v69, 0x3b9c, v81
	v_sub_f16_e32 v8, v62, v8
	v_fmac_f16_e32 v74, 0x38b4, v77
	v_fmac_f16_e32 v50, -0.5, v52
	v_fmac_f16_e32 v53, 0x38b4, v79
	v_fmac_f16_e32 v69, 0xb8b4, v79
	v_add_f16_e32 v8, v35, v8
	v_fmac_f16_e32 v76, 0x34f2, v3
	v_fmac_f16_e32 v74, 0x34f2, v3
	;; [unrolled: 1-line block ×4, first 2 shown]
	v_add_f16_e32 v23, v33, v0
	v_sub_f16_e32 v0, v58, v0
	v_mul_f16_e32 v3, 0xb8b4, v48
	v_sub_f16_e32 v48, v19, v20
	v_add_f16_e32 v52, v24, v26
	v_fmac_f16_e32 v51, -0.5, v23
	v_sub_f16_e32 v23, v34, v33
	v_fmamk_f16 v33, v67, 0x3b9c, v50
	v_fmac_f16_e32 v50, 0xbb9c, v67
	v_fmac_f16_e32 v3, 0xba79, v22
	v_add_f16_e32 v52, v52, v7
	v_add_f16_e32 v0, v23, v0
	v_fmac_f16_e32 v33, 0xb8b4, v63
	v_fmac_f16_e32 v50, 0x38b4, v63
	v_add_f16_e32 v22, v74, v3
	v_add_f16_e32 v52, v52, v18
	;; [unrolled: 1-line block ×3, first 2 shown]
	v_fmac_f16_e32 v33, 0x34f2, v8
	v_fmac_f16_e32 v50, 0x34f2, v8
	v_fmamk_f16 v8, v59, 0xbb9c, v51
	v_fmac_f16_e32 v51, 0x3b9c, v59
	v_fma_f16 v58, -0.5, v58, v54
	v_sub_f16_e32 v59, v5, v2
	v_sub_f16_e32 v62, v25, v21
	v_fmac_f16_e32 v8, 0x38b4, v56
	v_fmac_f16_e32 v51, 0xb8b4, v56
	v_sub_f16_e32 v60, v6, v16
	v_sub_f16_e32 v63, v32, v17
	v_fmamk_f16 v64, v62, 0x3b9c, v58
	v_fmac_f16_e32 v8, 0x34f2, v0
	v_fmac_f16_e32 v51, 0x34f2, v0
	v_add_f16_e32 v82, v76, v68
	v_fmac_f16_e32 v58, 0xbb9c, v62
	v_fmac_f16_e32 v64, 0x38b4, v63
	v_mul_f16_e32 v0, 0xbb9c, v8
	v_mul_f16_e32 v8, 0x34f2, v8
	;; [unrolled: 1-line block ×3, first 2 shown]
	v_pack_b32_f16 v82, v82, v83
	v_fmac_f16_e32 v58, 0xb8b4, v63
	v_fmac_f16_e32 v0, 0x34f2, v33
	;; [unrolled: 1-line block ×3, first 2 shown]
	v_mul_f16_e32 v33, 0xb4f2, v51
	v_fmac_f16_e32 v23, 0xb4f2, v50
	ds_store_2addr_b32 v189, v73, v82 offset1:30
	v_add_f16_e32 v34, v55, v0
	v_add_f16_e32 v35, v53, v8
	v_fmac_f16_e32 v33, 0x3b9c, v50
	v_sub_f16_e32 v0, v55, v0
	v_sub_f16_e32 v8, v53, v8
	v_add_f16_e32 v53, v4, v27
	v_pack_b32_f16 v34, v34, v35
	v_add_f16_e32 v35, v1, v23
	v_add_f16_e32 v50, v69, v33
	v_pack_b32_f16 v0, v0, v8
	v_sub_f16_e32 v8, v78, v9
	v_add_f16_e32 v55, v54, v5
	v_add_f16_e32 v53, v53, v19
	v_pack_b32_f16 v35, v35, v50
	s_delay_alu instid0(VALU_DEP_3) | instskip(NEXT) | instid1(VALU_DEP_3)
	v_add_f16_e32 v55, v55, v6
	v_add_f16_e32 v53, v53, v20
	ds_store_2addr_b32 v189, v34, v35 offset0:60 offset1:90
	v_add_f16_e32 v34, v78, v9
	v_sub_f16_e32 v9, v2, v16
	v_add_f16_e32 v55, v55, v16
	s_delay_alu instid0(VALU_DEP_3) | instskip(NEXT) | instid1(VALU_DEP_2)
	v_pack_b32_f16 v22, v22, v34
	v_add_f16_e32 v55, v55, v2
	ds_store_2addr_b32 v189, v22, v10 offset0:120 offset1:150
	v_sub_f16_e32 v10, v76, v68
	v_add_f16_e32 v22, v19, v20
	s_delay_alu instid0(VALU_DEP_2) | instskip(NEXT) | instid1(VALU_DEP_2)
	v_pack_b32_f16 v10, v10, v11
	v_fma_f16 v22, -0.5, v22, v4
	ds_store_2addr_b32 v189, v10, v0 offset0:180 offset1:210
	v_sub_f16_e32 v0, v1, v23
	v_sub_f16_e32 v1, v74, v3
	;; [unrolled: 1-line block ×4, first 2 shown]
	s_delay_alu instid0(VALU_DEP_3) | instskip(NEXT) | instid1(VALU_DEP_3)
	v_pack_b32_f16 v1, v1, v8
	v_pack_b32_f16 v0, v0, v3
	scratch_load_b32 v3, off, off offset:292 ; 4-byte Folded Reload
	v_sub_f16_e32 v8, v21, v17
	s_waitcnt vmcnt(0)
	ds_store_2addr_b32 v3, v0, v1 offset0:112 offset1:142
	v_lshrrev_b32_e32 v0, 16, v100
	v_lshrrev_b32_e32 v3, 16, v161
	s_delay_alu instid0(VALU_DEP_1) | instskip(SKIP_1) | instid1(VALU_DEP_2)
	v_mul_f16_e32 v1, v3, v0
	v_mul_f16_e32 v3, v3, v100
	v_fmac_f16_e64 v1, v161, v100
	s_delay_alu instid0(VALU_DEP_2) | instskip(SKIP_1) | instid1(VALU_DEP_3)
	v_fma_f16 v0, v161, v0, -v3
	v_sub_f16_e32 v3, v25, v32
	v_sub_f16_e32 v10, v1, v18
	s_delay_alu instid0(VALU_DEP_3) | instskip(NEXT) | instid1(VALU_DEP_3)
	v_sub_f16_e32 v11, v0, v20
	v_add_f16_e32 v3, v3, v8
	v_sub_f16_e32 v8, v5, v6
	v_sub_f16_e32 v23, v26, v1
	;; [unrolled: 1-line block ×3, first 2 shown]
	v_add_f16_e32 v52, v52, v1
	v_add_f16_e32 v53, v53, v0
	;; [unrolled: 1-line block ×3, first 2 shown]
	v_sub_f16_e32 v9, v26, v7
	v_fmamk_f16 v34, v23, 0x3b9c, v22
	v_fmac_f16_e32 v22, 0xbb9c, v23
	v_add_f16_e32 v57, v55, v53
	v_fmac_f16_e32 v64, 0x34f2, v8
	v_add_f16_e32 v9, v9, v10
	v_sub_f16_e32 v10, v27, v19
	v_fmac_f16_e32 v34, 0x38b4, v33
	v_fmac_f16_e32 v22, 0xb8b4, v33
	;; [unrolled: 1-line block ×3, first 2 shown]
	s_delay_alu instid0(VALU_DEP_4) | instskip(SKIP_2) | instid1(VALU_DEP_3)
	v_add_f16_e32 v10, v10, v11
	v_add_f16_e32 v11, v7, v18
	v_sub_f16_e32 v7, v7, v26
	v_fmac_f16_e32 v34, 0x34f2, v10
	s_delay_alu instid0(VALU_DEP_3) | instskip(SKIP_1) | instid1(VALU_DEP_3)
	v_fma_f16 v11, -0.5, v11, v24
	v_fmac_f16_e32 v22, 0x34f2, v10
	v_mul_f16_e32 v51, 0xb8b4, v34
	s_delay_alu instid0(VALU_DEP_3) | instskip(SKIP_2) | instid1(VALU_DEP_3)
	v_fmamk_f16 v50, v35, 0xbb9c, v11
	v_mul_f16_e32 v34, 0x3a79, v34
	v_fmac_f16_e32 v11, 0x3b9c, v35
	v_fmac_f16_e32 v50, 0xb8b4, v48
	s_delay_alu instid0(VALU_DEP_2) | instskip(NEXT) | instid1(VALU_DEP_2)
	v_fmac_f16_e32 v11, 0x38b4, v48
	v_fmac_f16_e32 v50, 0x34f2, v9
	s_delay_alu instid0(VALU_DEP_2) | instskip(SKIP_1) | instid1(VALU_DEP_3)
	v_fmac_f16_e32 v11, 0x34f2, v9
	v_sub_f16_e32 v9, v55, v53
	v_fmac_f16_e32 v51, 0x3a79, v50
	v_fmac_f16_e32 v34, 0x38b4, v50
	v_add_f16_e32 v50, v49, v25
	s_delay_alu instid0(VALU_DEP_2) | instskip(NEXT) | instid1(VALU_DEP_2)
	v_add_f16_e32 v66, v64, v34
	v_add_f16_e32 v50, v50, v32
	s_delay_alu instid0(VALU_DEP_1) | instskip(NEXT) | instid1(VALU_DEP_1)
	v_add_f16_e32 v50, v50, v17
	v_add_f16_e32 v50, v50, v21
	s_delay_alu instid0(VALU_DEP_1) | instskip(SKIP_1) | instid1(VALU_DEP_2)
	v_add_f16_e32 v56, v50, v52
	v_sub_f16_e32 v8, v50, v52
	v_pack_b32_f16 v56, v56, v57
	v_add_f16_e32 v57, v32, v17
	v_sub_f16_e32 v17, v17, v21
	s_delay_alu instid0(VALU_DEP_4) | instskip(NEXT) | instid1(VALU_DEP_3)
	v_pack_b32_f16 v8, v8, v9
	v_fma_f16 v57, -0.5, v57, v49
	s_delay_alu instid0(VALU_DEP_1) | instskip(SKIP_1) | instid1(VALU_DEP_2)
	v_fmamk_f16 v61, v59, 0xbb9c, v57
	v_fmac_f16_e32 v57, 0x3b9c, v59
	v_fmac_f16_e32 v61, 0xb8b4, v60
	s_delay_alu instid0(VALU_DEP_2) | instskip(NEXT) | instid1(VALU_DEP_2)
	v_fmac_f16_e32 v57, 0x38b4, v60
	v_fmac_f16_e32 v61, 0x34f2, v3
	s_delay_alu instid0(VALU_DEP_2) | instskip(SKIP_1) | instid1(VALU_DEP_3)
	v_fmac_f16_e32 v57, 0x34f2, v3
	v_mul_f16_e32 v3, 0xb8b4, v22
	v_add_f16_e32 v65, v61, v51
	s_delay_alu instid0(VALU_DEP_2) | instskip(NEXT) | instid1(VALU_DEP_2)
	v_fmac_f16_e32 v3, 0xba79, v11
	v_pack_b32_f16 v65, v65, v66
	s_delay_alu instid0(VALU_DEP_2)
	v_add_f16_e32 v10, v57, v3
	ds_store_2addr_b32 v182, v56, v65 offset1:30
	v_add_f16_e32 v56, v25, v21
	v_add_f16_e32 v21, v26, v1
	v_sub_f16_e32 v1, v18, v1
	v_sub_f16_e32 v18, v19, v27
	v_add_f16_e32 v19, v27, v0
	v_sub_f16_e32 v0, v20, v0
	v_fmac_f16_e32 v24, -0.5, v21
	v_add_f16_e32 v1, v7, v1
	v_add_f16_e32 v7, v5, v2
	v_sub_f16_e32 v5, v6, v5
	v_sub_f16_e32 v2, v16, v2
	v_fmac_f16_e32 v4, -0.5, v19
	v_add_f16_e32 v0, v18, v0
	v_fmac_f16_e32 v54, -0.5, v7
	v_fmac_f16_e32 v49, -0.5, v56
	v_add_f16_e32 v2, v5, v2
	v_sub_f16_e32 v25, v32, v25
	s_delay_alu instid0(VALU_DEP_4) | instskip(SKIP_2) | instid1(VALU_DEP_4)
	v_fmamk_f16 v5, v63, 0xbb9c, v54
	v_fmac_f16_e32 v54, 0x3b9c, v63
	v_fmamk_f16 v6, v60, 0x3b9c, v49
	v_add_f16_e32 v17, v25, v17
	v_fmac_f16_e32 v49, 0xbb9c, v60
	v_fmac_f16_e32 v5, 0x38b4, v62
	;; [unrolled: 1-line block ×4, first 2 shown]
	s_delay_alu instid0(VALU_DEP_4) | instskip(NEXT) | instid1(VALU_DEP_4)
	v_fmac_f16_e32 v49, 0x38b4, v59
	v_fmac_f16_e32 v5, 0x34f2, v2
	s_delay_alu instid0(VALU_DEP_4) | instskip(SKIP_4) | instid1(VALU_DEP_4)
	v_fmac_f16_e32 v54, 0x34f2, v2
	v_fmamk_f16 v2, v33, 0xbb9c, v4
	v_fmac_f16_e32 v4, 0x3b9c, v33
	v_fmac_f16_e32 v6, 0x34f2, v17
	;; [unrolled: 1-line block ×4, first 2 shown]
	s_delay_alu instid0(VALU_DEP_4) | instskip(NEXT) | instid1(VALU_DEP_2)
	v_fmac_f16_e32 v4, 0xb8b4, v23
	v_fmac_f16_e32 v2, 0x34f2, v0
	s_delay_alu instid0(VALU_DEP_2) | instskip(SKIP_2) | instid1(VALU_DEP_2)
	v_fmac_f16_e32 v4, 0x34f2, v0
	v_fmamk_f16 v0, v48, 0x3b9c, v24
	v_fmac_f16_e32 v24, 0xbb9c, v48
	v_fmac_f16_e32 v0, 0xb8b4, v35
	s_delay_alu instid0(VALU_DEP_2) | instskip(NEXT) | instid1(VALU_DEP_2)
	v_fmac_f16_e32 v24, 0x38b4, v35
	v_fmac_f16_e32 v0, 0x34f2, v1
	s_delay_alu instid0(VALU_DEP_2) | instskip(SKIP_2) | instid1(VALU_DEP_2)
	v_fmac_f16_e32 v24, 0x34f2, v1
	v_mul_f16_e32 v1, 0xbb9c, v2
	v_mul_f16_e32 v2, 0x34f2, v2
	v_fmac_f16_e32 v1, 0x34f2, v0
	s_delay_alu instid0(VALU_DEP_2) | instskip(SKIP_2) | instid1(VALU_DEP_4)
	v_fmac_f16_e32 v2, 0x3b9c, v0
	v_mul_f16_e32 v0, 0xbb9c, v4
	v_mul_f16_e32 v4, 0xb4f2, v4
	v_add_f16_e32 v7, v6, v1
	s_delay_alu instid0(VALU_DEP_4) | instskip(NEXT) | instid1(VALU_DEP_4)
	v_add_f16_e32 v16, v5, v2
	v_fmac_f16_e32 v0, 0xb4f2, v24
	s_delay_alu instid0(VALU_DEP_4)
	v_fmac_f16_e32 v4, 0x3b9c, v24
	v_sub_f16_e32 v1, v6, v1
	v_sub_f16_e32 v2, v5, v2
	v_pack_b32_f16 v7, v7, v16
	v_add_f16_e32 v16, v49, v0
	v_sub_f16_e32 v0, v49, v0
	v_add_f16_e32 v17, v54, v4
	v_pack_b32_f16 v1, v1, v2
	v_sub_f16_e32 v2, v54, v4
	v_sub_f16_e32 v6, v64, v34
	s_delay_alu instid0(VALU_DEP_4) | instskip(NEXT) | instid1(VALU_DEP_3)
	v_pack_b32_f16 v16, v16, v17
	v_pack_b32_f16 v0, v0, v2
	scratch_load_b32 v2, off, off offset:288 ; 4-byte Folded Reload
	ds_store_2addr_b32 v182, v7, v16 offset0:60 offset1:90
	v_mul_f16_e32 v7, 0xba79, v22
	s_delay_alu instid0(VALU_DEP_1) | instskip(NEXT) | instid1(VALU_DEP_1)
	v_fmac_f16_e32 v7, 0x38b4, v11
	v_add_f16_e32 v11, v58, v7
	s_delay_alu instid0(VALU_DEP_1) | instskip(SKIP_2) | instid1(VALU_DEP_1)
	v_pack_b32_f16 v10, v10, v11
	ds_store_2addr_b32 v182, v10, v8 offset0:120 offset1:150
	v_sub_f16_e32 v8, v61, v51
	v_pack_b32_f16 v5, v8, v6
	ds_store_2addr_b32 v182, v5, v1 offset0:180 offset1:210
	v_sub_f16_e32 v1, v57, v3
	v_sub_f16_e32 v3, v58, v7
	s_delay_alu instid0(VALU_DEP_1)
	v_pack_b32_f16 v1, v1, v3
	s_waitcnt vmcnt(0)
	ds_store_2addr_b32 v2, v0, v1 offset0:112 offset1:142
	s_waitcnt lgkmcnt(0)
	s_barrier
	buffer_gl0_inv
	ds_load_2addr_b32 v[0:1], v160 offset0:72 offset1:172
	ds_load_2addr_b32 v[16:17], v111 offset0:48 offset1:148
	;; [unrolled: 1-line block ×4, first 2 shown]
	s_waitcnt lgkmcnt(3)
	v_lshrrev_b32_e32 v2, 16, v1
	v_mul_f16_e32 v3, v85, v1
	s_waitcnt lgkmcnt(2)
	v_lshrrev_b32_e32 v9, 16, v17
	v_mul_f16_e32 v10, v105, v17
	v_mul_f16_e32 v49, v85, v2
	v_fma_f16 v50, v40, v2, -v3
	ds_load_2addr_b32 v[2:3], v128 offset0:88 offset1:188
	v_fma_f16 v20, v47, v9, -v10
	v_fmac_f16_e32 v49, v40, v1
	s_waitcnt lgkmcnt(0)
	v_lshrrev_b32_e32 v4, 16, v2
	v_mul_f16_e32 v5, v98, v2
	v_lshrrev_b32_e32 v8, 16, v3
	s_delay_alu instid0(VALU_DEP_3) | instskip(NEXT) | instid1(VALU_DEP_3)
	v_mul_f16_e32 v54, v98, v4
	v_fma_f16 v53, v41, v4, -v5
	ds_load_2addr_b32 v[4:5], v157 offset0:32 offset1:132
	v_fmac_f16_e32 v54, v41, v2
	ds_load_2addr_b32 v[1:2], v127 offset0:144 offset1:244
	s_waitcnt lgkmcnt(1)
	v_lshrrev_b32_e32 v6, 16, v5
	v_mul_f16_e64 v7, v255, v5
	s_waitcnt lgkmcnt(0)
	v_mul_f16_e64 v11, v252, v1
	s_delay_alu instid0(VALU_DEP_3) | instskip(NEXT) | instid1(VALU_DEP_3)
	v_mul_f16_e64 v52, v255, v6
	v_fma_f16 v51, v42, v6, -v7
	v_lshrrev_b32_e32 v6, 16, v16
	v_mul_f16_e32 v7, v113, v16
	s_delay_alu instid0(VALU_DEP_4) | instskip(NEXT) | instid1(VALU_DEP_3)
	v_fmac_f16_e32 v52, v42, v5
	v_mul_f16_e32 v56, v113, v6
	s_delay_alu instid0(VALU_DEP_3) | instskip(SKIP_2) | instid1(VALU_DEP_4)
	v_fma_f16 v55, v43, v6, -v7
	v_lshrrev_b32_e32 v6, 16, v1
	v_mul_f16_e64 v7, v254, v8
	v_fmac_f16_e32 v56, v43, v16
	v_mul_f16_e32 v16, v105, v9
	s_delay_alu instid0(VALU_DEP_4) | instskip(NEXT) | instid1(VALU_DEP_4)
	v_mul_f16_e64 v5, v252, v6
	v_fmac_f16_e32 v7, v45, v3
	v_mul_f16_e64 v3, v254, v3
	v_mul_f16_e32 v9, v112, v23
	v_fmac_f16_e32 v16, v47, v17
	v_fmac_f16_e32 v5, v44, v1
	v_lshrrev_b32_e32 v1, 16, v2
	v_fma_f16 v17, v45, v8, -v3
	v_lshrrev_b32_e32 v3, 16, v22
	v_mul_f16_e64 v8, v253, v22
	v_fma_f16 v6, v44, v6, -v11
	v_mul_f16_e32 v40, v116, v1
	s_delay_alu instid0(VALU_DEP_4) | instskip(NEXT) | instid1(VALU_DEP_4)
	v_mul_f16_e64 v19, v253, v3
	v_fma_f16 v18, v46, v3, -v8
	v_lshrrev_b32_e32 v3, 16, v4
	s_delay_alu instid0(VALU_DEP_4) | instskip(SKIP_4) | instid1(VALU_DEP_4)
	v_fmac_f16_e32 v40, v12, v2
	v_mul_f16_e32 v2, v116, v2
	v_lshrrev_b32_e32 v8, 16, v23
	v_fmac_f16_e32 v19, v46, v22
	v_mul_f16_e64 v21, v195, v3
	v_fma_f16 v41, v12, v1, -v2
	ds_load_2addr_b32 v[1:2], v149 offset0:120 offset1:220
	v_mul_f16_e32 v22, v112, v8
	v_fmac_f16_e32 v21, v13, v4
	v_mul_f16_e64 v4, v195, v4
	v_fma_f16 v24, v14, v8, -v9
	s_delay_alu instid0(VALU_DEP_4) | instskip(NEXT) | instid1(VALU_DEP_3)
	v_fmac_f16_e32 v22, v14, v23
	v_fma_f16 v25, v13, v3, -v4
	v_lshrrev_b32_e32 v3, 16, v15
	ds_load_2addr_b32 v[12:13], v136 offset0:96 offset1:196
	s_waitcnt lgkmcnt(1)
	v_lshrrev_b32_e32 v4, 16, v1
	v_mul_f16_e32 v8, v3, v1
	s_delay_alu instid0(VALU_DEP_2) | instskip(NEXT) | instid1(VALU_DEP_2)
	v_mul_f16_e32 v3, v3, v4
	v_fma_f16 v4, v15, v4, -v8
	v_mul_f16_e64 v8, v237, v2
	s_delay_alu instid0(VALU_DEP_3)
	v_fmac_f16_e32 v3, v15, v1
	v_lshrrev_b32_e32 v1, 16, v2
	ds_load_2addr_b32 v[14:15], v110 offset0:80 offset1:180
	s_waitcnt lgkmcnt(1)
	v_lshrrev_b32_e32 v10, 16, v13
	v_mul_f16_e64 v11, v250, v13
	v_mul_f16_e64 v43, v237, v1
	v_fma_f16 v42, v28, v1, -v8
	s_delay_alu instid0(VALU_DEP_4) | instskip(NEXT) | instid1(VALU_DEP_4)
	v_mul_f16_e64 v27, v250, v10
	v_fma_f16 v33, v39, v10, -v11
	v_lshrrev_b32_e32 v10, 16, v35
	v_fmac_f16_e32 v43, v28, v2
	ds_load_2addr_b32 v[1:2], v144 offset0:8 offset1:108
	v_fmac_f16_e32 v27, v39, v13
	v_mul_f16_e32 v11, v120, v35
	v_sub_f16_e32 v76, v17, v33
	s_delay_alu instid0(VALU_DEP_3) | instskip(SKIP_3) | instid1(VALU_DEP_2)
	v_sub_f16_e32 v77, v7, v27
	s_waitcnt lgkmcnt(0)
	v_lshrrev_b32_e32 v8, 16, v1
	v_mul_f16_e64 v9, v247, v1
	v_mul_f16_e64 v48, v247, v8
	s_delay_alu instid0(VALU_DEP_2) | instskip(SKIP_2) | instid1(VALU_DEP_4)
	v_fma_f16 v46, v29, v8, -v9
	v_lshrrev_b32_e32 v8, 16, v15
	v_mul_f16_e64 v9, v236, v15
	v_fmac_f16_e32 v48, v29, v1
	s_delay_alu instid0(VALU_DEP_4) | instskip(NEXT) | instid1(VALU_DEP_4)
	v_sub_f16_e32 v62, v55, v46
	v_mul_f16_e64 v45, v236, v8
	s_delay_alu instid0(VALU_DEP_4) | instskip(SKIP_4) | instid1(VALU_DEP_4)
	v_fma_f16 v44, v30, v8, -v9
	v_lshrrev_b32_e32 v8, 16, v12
	v_mul_f16_e64 v9, v251, v12
	v_add_f16_e32 v58, v56, v48
	v_fmac_f16_e32 v45, v30, v15
	v_mul_f16_e64 v57, v251, v8
	s_delay_alu instid0(VALU_DEP_4) | instskip(SKIP_2) | instid1(VALU_DEP_4)
	v_fma_f16 v47, v31, v8, -v9
	v_lshrrev_b32_e32 v8, 16, v2
	v_mul_f16_e64 v9, v246, v2
	v_fmac_f16_e32 v57, v31, v12
	s_delay_alu instid0(VALU_DEP_4) | instskip(NEXT) | instid1(VALU_DEP_4)
	v_sub_f16_e32 v59, v53, v47
	v_mul_f16_e64 v26, v246, v8
	s_delay_alu instid0(VALU_DEP_4)
	v_fma_f16 v30, v37, v8, -v9
	v_lshrrev_b32_e32 v8, 16, v34
	v_mul_f16_e64 v9, v245, v34
	v_add_f16_e32 v61, v54, v57
	v_fmac_f16_e32 v26, v37, v2
	ds_load_2addr_b32 v[1:2], v108 offset0:64 offset1:164
	v_mul_f16_e64 v32, v245, v8
	v_fma_f16 v31, v38, v8, -v9
	v_lshrrev_b32_e32 v8, 16, v14
	v_lshrrev_b32_e32 v9, 16, v219
	v_sub_f16_e32 v64, v48, v57
	v_fmac_f16_e32 v32, v38, v34
	v_sub_f16_e32 v72, v20, v30
	v_sub_f16_e32 v74, v16, v26
	s_waitcnt lgkmcnt(0)
	v_lshrrev_b32_e32 v12, 16, v1
	v_mul_f16_e64 v13, v244, v1
	s_delay_alu instid0(VALU_DEP_2) | instskip(NEXT) | instid1(VALU_DEP_2)
	v_mul_f16_e64 v29, v244, v12
	v_fma_f16 v28, v36, v12, -v13
	v_mul_f16_e32 v13, v9, v8
	v_mul_f16_e32 v9, v9, v14
	s_delay_alu instid0(VALU_DEP_4) | instskip(SKIP_1) | instid1(VALU_DEP_4)
	v_fmac_f16_e32 v29, v36, v1
	v_lshrrev_b32_e32 v1, 16, v2
	v_fmac_f16_e64 v13, v219, v14
	v_mul_f16_e32 v14, v120, v10
	v_fma_f16 v9, v219, v8, -v9
	v_fma_f16 v8, v220, v10, -v11
	v_mul_f16_e32 v12, v126, v1
	v_lshrrev_b32_e32 v10, 16, v221
	v_fmac_f16_e64 v14, v220, v35
	v_sub_f16_e32 v73, v4, v9
	v_sub_f16_e32 v75, v3, v13
	v_fmac_f16_e64 v12, v218, v2
	v_mul_f16_e32 v2, v126, v2
	s_delay_alu instid0(VALU_DEP_2) | instskip(NEXT) | instid1(VALU_DEP_2)
	v_sub_f16_e32 v69, v12, v14
	v_fma_f16 v15, v218, v1, -v2
	ds_load_2addr_b32 v[1:2], v119 offset0:40 offset1:140
	v_sub_f16_e32 v68, v15, v8
	s_waitcnt lgkmcnt(0)
	v_lshrrev_b32_e32 v11, 16, v1
	v_mul_f16_e32 v23, v10, v1
	s_delay_alu instid0(VALU_DEP_2) | instskip(NEXT) | instid1(VALU_DEP_2)
	v_mul_f16_e32 v10, v10, v11
	v_fma_f16 v23, v221, v11, -v23
	v_mul_f16_e64 v11, v229, v2
	s_delay_alu instid0(VALU_DEP_3) | instskip(SKIP_1) | instid1(VALU_DEP_4)
	v_fmac_f16_e64 v10, v221, v1
	v_lshrrev_b32_e32 v1, 16, v2
	v_sub_f16_e32 v78, v25, v23
	s_delay_alu instid0(VALU_DEP_3) | instskip(NEXT) | instid1(VALU_DEP_3)
	v_sub_f16_e32 v79, v21, v10
	v_mul_f16_e64 v38, v229, v1
	v_fma_f16 v37, v226, v1, -v11
	s_delay_alu instid0(VALU_DEP_2)
	v_fmac_f16_e64 v38, v226, v2
	ds_load_2addr_b32 v[1:2], v107 offset0:112 offset1:212
	v_sub_f16_e32 v66, v45, v38
	s_waitcnt lgkmcnt(0)
	v_lshrrev_b32_e32 v11, 16, v1
	v_mul_f16_e64 v34, v240, v1
	v_mul_f16_e64 v36, v217, v2
	s_delay_alu instid0(VALU_DEP_3) | instskip(NEXT) | instid1(VALU_DEP_3)
	v_mul_f16_e64 v35, v240, v11
	v_fma_f16 v34, v234, v11, -v34
	s_delay_alu instid0(VALU_DEP_2) | instskip(SKIP_1) | instid1(VALU_DEP_3)
	v_fmac_f16_e64 v35, v234, v1
	v_lshrrev_b32_e32 v1, 16, v2
	v_sub_f16_e32 v67, v18, v34
	s_delay_alu instid0(VALU_DEP_2) | instskip(SKIP_2) | instid1(VALU_DEP_3)
	v_mul_f16_e64 v11, v217, v1
	v_fma_f16 v36, v166, v1, -v36
	v_sub_f16_e32 v1, v54, v56
	v_fmac_f16_e64 v11, v166, v2
	v_sub_f16_e32 v2, v57, v48
	s_delay_alu instid0(VALU_DEP_4) | instskip(NEXT) | instid1(VALU_DEP_3)
	v_sub_f16_e32 v70, v24, v36
	v_sub_f16_e32 v71, v22, v11
	s_delay_alu instid0(VALU_DEP_3) | instskip(SKIP_4) | instid1(VALU_DEP_2)
	v_add_f16_e32 v39, v1, v2
	ds_load_2addr_b32 v[1:2], v148 offset1:100
	s_waitcnt lgkmcnt(0)
	v_fma_f16 v58, -0.5, v58, v1
	v_fma_f16 v61, -0.5, v61, v1
	v_fmamk_f16 v60, v59, 0xbb9c, v58
	v_fmac_f16_e32 v58, 0x3b9c, v59
	s_delay_alu instid0(VALU_DEP_3) | instskip(SKIP_1) | instid1(VALU_DEP_4)
	v_fmamk_f16 v63, v62, 0x3b9c, v61
	v_fmac_f16_e32 v61, 0xbb9c, v62
	v_fmac_f16_e32 v60, 0xb8b4, v62
	s_delay_alu instid0(VALU_DEP_4)
	v_fmac_f16_e32 v58, 0x38b4, v62
	v_sub_f16_e32 v62, v56, v54
	v_fmac_f16_e32 v63, 0xb8b4, v59
	v_fmac_f16_e32 v61, 0x38b4, v59
	;; [unrolled: 1-line block ×4, first 2 shown]
	v_add_f16_e32 v39, v1, v54
	v_add_f16_e32 v62, v62, v64
	v_sub_f16_e32 v54, v54, v57
	v_lshrrev_b32_e32 v1, 16, v1
	v_add_f16_e32 v59, v53, v47
	v_add_f16_e32 v39, v39, v56
	v_fmac_f16_e32 v63, 0x34f2, v62
	v_fmac_f16_e32 v61, 0x34f2, v62
	v_add_f16_e32 v62, v1, v53
	v_sub_f16_e32 v64, v42, v44
	v_add_f16_e32 v39, v39, v48
	v_sub_f16_e32 v48, v56, v48
	v_sub_f16_e32 v56, v53, v55
	;; [unrolled: 1-line block ×3, first 2 shown]
	s_delay_alu instid0(VALU_DEP_4) | instskip(SKIP_1) | instid1(VALU_DEP_1)
	v_add_f16_e32 v39, v39, v57
	v_sub_f16_e32 v57, v47, v46
	v_add_f16_e32 v56, v56, v57
	v_add_f16_e32 v57, v55, v46
	s_delay_alu instid0(VALU_DEP_1) | instskip(SKIP_2) | instid1(VALU_DEP_1)
	v_fma_f16 v57, -0.5, v57, v1
	v_fmac_f16_e32 v1, -0.5, v59
	v_add_f16_e32 v59, v62, v55
	v_add_f16_e32 v55, v59, v46
	v_sub_f16_e32 v46, v46, v47
	s_delay_alu instid0(VALU_DEP_4) | instskip(SKIP_1) | instid1(VALU_DEP_4)
	v_fmamk_f16 v59, v48, 0xbb9c, v1
	v_fmac_f16_e32 v1, 0x3b9c, v48
	v_add_f16_e32 v55, v55, v47
	v_fmamk_f16 v47, v54, 0x3b9c, v57
	v_fmac_f16_e32 v57, 0xbb9c, v54
	v_add_f16_e32 v46, v53, v46
	v_sub_f16_e32 v53, v38, v45
	v_fmac_f16_e32 v59, 0x38b4, v54
	v_fmac_f16_e32 v47, 0x38b4, v48
	;; [unrolled: 1-line block ×3, first 2 shown]
	v_sub_f16_e32 v48, v52, v43
	v_fmac_f16_e32 v1, 0xb8b4, v54
	v_add_f16_e32 v54, v52, v38
	v_fmac_f16_e32 v47, 0x34f2, v56
	v_fmac_f16_e32 v57, 0x34f2, v56
	v_add_f16_e32 v48, v48, v53
	v_add_f16_e32 v53, v43, v45
	;; [unrolled: 1-line block ×3, first 2 shown]
	v_fmac_f16_e32 v59, 0x34f2, v46
	v_fmac_f16_e32 v1, 0x34f2, v46
	s_delay_alu instid0(VALU_DEP_4) | instskip(SKIP_3) | instid1(VALU_DEP_3)
	v_fma_f16 v53, -0.5, v53, v49
	v_fmac_f16_e32 v49, -0.5, v54
	v_sub_f16_e32 v54, v51, v37
	v_add_f16_e32 v46, v56, v43
	v_fmamk_f16 v65, v64, 0x3b9c, v49
	s_delay_alu instid0(VALU_DEP_3)
	v_fmamk_f16 v62, v54, 0xbb9c, v53
	v_fmac_f16_e32 v53, 0x3b9c, v54
	v_fmac_f16_e32 v49, 0xbb9c, v64
	v_add_f16_e32 v46, v46, v45
	v_fmac_f16_e32 v65, 0xb8b4, v54
	v_fmac_f16_e32 v62, 0xb8b4, v64
	;; [unrolled: 1-line block ×3, first 2 shown]
	v_sub_f16_e32 v64, v43, v52
	v_sub_f16_e32 v43, v43, v45
	;; [unrolled: 1-line block ×3, first 2 shown]
	v_fmac_f16_e32 v62, 0x34f2, v48
	v_fmac_f16_e32 v53, 0x34f2, v48
	v_sub_f16_e32 v48, v37, v44
	v_fmac_f16_e32 v49, 0x38b4, v54
	v_add_f16_e32 v46, v46, v38
	v_sub_f16_e32 v38, v52, v38
	v_add_f16_e32 v52, v51, v37
	v_add_f16_e32 v45, v45, v48
	;; [unrolled: 1-line block ×5, first 2 shown]
	v_sub_f16_e32 v66, v28, v31
	s_delay_alu instid0(VALU_DEP_4)
	v_fma_f16 v48, -0.5, v48, v50
	v_fmac_f16_e32 v50, -0.5, v52
	v_add_f16_e32 v52, v54, v42
	v_sub_f16_e32 v42, v42, v51
	v_fmac_f16_e32 v65, 0x34f2, v64
	v_fmac_f16_e32 v49, 0x34f2, v64
	v_sub_f16_e32 v64, v29, v32
	v_add_f16_e32 v51, v52, v44
	v_fmamk_f16 v52, v43, 0xbb9c, v50
	v_fmac_f16_e32 v50, 0x3b9c, v43
	s_delay_alu instid0(VALU_DEP_3)
	v_add_f16_e32 v51, v51, v37
	v_sub_f16_e32 v37, v44, v37
	v_fmamk_f16 v44, v38, 0x3b9c, v48
	v_fmac_f16_e32 v48, 0xbb9c, v38
	v_fmac_f16_e32 v52, 0x38b4, v38
	;; [unrolled: 1-line block ×3, first 2 shown]
	v_add_f16_e32 v37, v42, v37
	v_fmac_f16_e32 v44, 0x38b4, v43
	v_fmac_f16_e32 v48, 0xb8b4, v43
	v_add_f16_e32 v56, v55, v51
	v_sub_f16_e32 v51, v55, v51
	v_fmac_f16_e32 v52, 0x34f2, v37
	v_fmac_f16_e32 v44, 0x34f2, v45
	;; [unrolled: 1-line block ×4, first 2 shown]
	s_delay_alu instid0(VALU_DEP_4) | instskip(NEXT) | instid1(VALU_DEP_4)
	v_mul_f16_e32 v42, 0xbb9c, v52
	v_mul_f16_e32 v37, 0xb8b4, v44
	v_mul_f16_e32 v38, 0x3a79, v44
	v_mul_f16_e32 v43, 0x34f2, v52
	v_mul_f16_e32 v44, 0xbb9c, v50
	v_mul_f16_e32 v45, 0xb4f2, v50
	v_fmac_f16_e32 v42, 0x34f2, v65
	v_fmac_f16_e32 v38, 0x38b4, v62
	;; [unrolled: 1-line block ×5, first 2 shown]
	v_mul_f16_e32 v49, 0xb8b4, v48
	v_mul_f16_e32 v48, 0xba79, v48
	v_fmac_f16_e32 v37, 0x3a79, v62
	v_add_f16_e32 v52, v63, v42
	v_add_f16_e32 v55, v47, v38
	v_fmac_f16_e32 v49, 0xba79, v53
	v_fmac_f16_e32 v48, 0x38b4, v53
	v_sub_f16_e32 v38, v47, v38
	v_add_f16_e32 v47, v59, v43
	v_add_f16_e32 v50, v39, v46
	v_sub_f16_e32 v39, v39, v46
	v_add_f16_e32 v46, v60, v37
	v_sub_f16_e32 v37, v60, v37
	v_sub_f16_e32 v42, v63, v42
	v_add_f16_e32 v54, v58, v49
	v_sub_f16_e32 v49, v58, v49
	;; [unrolled: 3-line block ×3, first 2 shown]
	v_add_f16_e32 v45, v57, v48
	v_pack_b32_f16 v52, v52, v47
	v_lshrrev_b32_e32 v47, 16, v2
	v_pack_b32_f16 v51, v39, v51
	v_pack_b32_f16 v43, v42, v43
	;; [unrolled: 1-line block ×4, first 2 shown]
	v_add_f16_e32 v37, v2, v7
	v_add_f16_e32 v38, v47, v17
	;; [unrolled: 1-line block ×5, first 2 shown]
	v_sub_f16_e32 v44, v61, v44
	v_sub_f16_e32 v48, v57, v48
	v_add_f16_e32 v37, v37, v16
	v_add_f16_e32 v38, v38, v20
	;; [unrolled: 1-line block ×4, first 2 shown]
	v_pack_b32_f16 v1, v44, v1
	v_pack_b32_f16 v44, v49, v48
	v_add_f16_e32 v37, v37, v26
	v_add_f16_e32 v38, v38, v30
	;; [unrolled: 1-line block ×4, first 2 shown]
	v_pack_b32_f16 v46, v46, v55
	v_add_f16_e32 v39, v37, v27
	v_add_f16_e32 v37, v38, v33
	;; [unrolled: 1-line block ×4, first 2 shown]
	v_pack_b32_f16 v53, v53, v58
	v_pack_b32_f16 v50, v50, v56
	v_sub_f16_e32 v65, v19, v35
	v_add_f16_e32 v48, v39, v42
	v_add_f16_e32 v49, v37, v38
	v_sub_f16_e32 v58, v9, v23
	s_delay_alu instid0(VALU_DEP_2)
	v_pack_b32_f16 v48, v48, v49
	ds_store_b32 v148, v46 offset:1200
	ds_store_b32 v148, v52 offset:2400
	;; [unrolled: 1-line block ×9, first 2 shown]
	ds_store_2addr_b32 v148, v50, v48 offset1:100
	v_add_f16_e32 v1, v3, v13
	v_add_f16_e32 v43, v21, v10
	v_lshrrev_b32_e32 v54, 16, v0
	v_add_f16_e32 v44, v0, v21
	v_sub_f16_e32 v45, v13, v10
	v_fma_f16 v1, -0.5, v1, v0
	v_fmac_f16_e32 v0, -0.5, v43
	v_sub_f16_e32 v43, v3, v21
	v_sub_f16_e32 v46, v14, v11
	v_add_f16_e32 v48, v41, v24
	v_sub_f16_e32 v51, v26, v27
	v_sub_f16_e32 v52, v30, v33
	v_add_f16_e32 v80, v43, v45
	v_add_f16_e32 v43, v12, v14
	;; [unrolled: 1-line block ×4, first 2 shown]
	s_delay_alu instid0(VALU_DEP_3) | instskip(SKIP_1) | instid1(VALU_DEP_1)
	v_fma_f16 v49, -0.5, v43, v40
	v_add_f16_e32 v43, v22, v11
	v_fmac_f16_e32 v40, -0.5, v43
	v_sub_f16_e32 v43, v12, v22
	v_sub_f16_e32 v22, v22, v12
	v_add_f16_e32 v12, v45, v12
	s_delay_alu instid0(VALU_DEP_4) | instskip(NEXT) | instid1(VALU_DEP_4)
	v_fmamk_f16 v59, v68, 0x3b9c, v40
	v_add_f16_e32 v81, v43, v46
	v_add_f16_e32 v43, v15, v8
	v_sub_f16_e32 v46, v8, v36
	v_fmac_f16_e32 v40, 0xbb9c, v68
	v_fmac_f16_e32 v59, 0xb8b4, v70
	s_delay_alu instid0(VALU_DEP_4) | instskip(SKIP_1) | instid1(VALU_DEP_4)
	v_fma_f16 v50, -0.5, v43, v41
	v_add_f16_e32 v43, v24, v36
	v_fmac_f16_e32 v40, 0x38b4, v70
	s_delay_alu instid0(VALU_DEP_4) | instskip(NEXT) | instid1(VALU_DEP_3)
	v_fmac_f16_e32 v59, 0x34f2, v81
	v_fmac_f16_e32 v41, -0.5, v43
	v_sub_f16_e32 v43, v15, v24
	s_delay_alu instid0(VALU_DEP_4) | instskip(SKIP_2) | instid1(VALU_DEP_4)
	v_fmac_f16_e32 v40, 0x34f2, v81
	v_sub_f16_e32 v24, v24, v15
	v_add_f16_e32 v15, v48, v15
	v_add_f16_e32 v82, v43, v46
	;; [unrolled: 1-line block ×4, first 2 shown]
	s_delay_alu instid0(VALU_DEP_2) | instskip(NEXT) | instid1(VALU_DEP_2)
	v_fma_f16 v43, -0.5, v43, v2
	v_fmac_f16_e32 v2, -0.5, v46
	v_sub_f16_e32 v46, v16, v7
	s_delay_alu instid0(VALU_DEP_1) | instskip(SKIP_2) | instid1(VALU_DEP_2)
	v_add_f16_e32 v83, v46, v51
	v_add_f16_e32 v46, v29, v32
	v_sub_f16_e32 v51, v32, v35
	v_fma_f16 v55, -0.5, v46, v5
	v_add_f16_e32 v46, v19, v35
	s_delay_alu instid0(VALU_DEP_1) | instskip(SKIP_2) | instid1(VALU_DEP_3)
	v_fmac_f16_e32 v5, -0.5, v46
	v_sub_f16_e32 v46, v29, v19
	v_sub_f16_e32 v19, v19, v29
	v_fmamk_f16 v57, v66, 0x3b9c, v5
	s_delay_alu instid0(VALU_DEP_3) | instskip(SKIP_4) | instid1(VALU_DEP_4)
	v_add_f16_e32 v84, v46, v51
	v_add_f16_e32 v46, v28, v31
	v_sub_f16_e32 v51, v31, v34
	v_fmac_f16_e32 v5, 0xbb9c, v66
	v_fmac_f16_e32 v57, 0xb8b4, v67
	v_fma_f16 v56, -0.5, v46, v6
	v_add_f16_e32 v46, v18, v34
	s_delay_alu instid0(VALU_DEP_4) | instskip(NEXT) | instid1(VALU_DEP_4)
	v_fmac_f16_e32 v5, 0x38b4, v67
	v_fmac_f16_e32 v57, 0x34f2, v84
	s_delay_alu instid0(VALU_DEP_3) | instskip(SKIP_1) | instid1(VALU_DEP_4)
	v_fmac_f16_e32 v6, -0.5, v46
	v_sub_f16_e32 v46, v28, v18
	v_fmac_f16_e32 v5, 0x34f2, v84
	v_sub_f16_e32 v18, v18, v28
	s_delay_alu instid0(VALU_DEP_3) | instskip(SKIP_2) | instid1(VALU_DEP_2)
	v_add_f16_e32 v85, v46, v51
	v_add_f16_e32 v46, v20, v30
	;; [unrolled: 1-line block ×3, first 2 shown]
	v_fma_f16 v46, -0.5, v46, v47
	s_delay_alu instid0(VALU_DEP_2)
	v_fmac_f16_e32 v47, -0.5, v51
	v_sub_f16_e32 v51, v20, v17
	v_sub_f16_e32 v17, v17, v20
	;; [unrolled: 1-line block ×3, first 2 shown]
	v_fmamk_f16 v29, v77, 0x3b9c, v46
	v_fmamk_f16 v60, v74, 0xbb9c, v47
	v_add_f16_e32 v86, v51, v52
	v_fmamk_f16 v51, v64, 0xbb9c, v6
	v_fmac_f16_e32 v6, 0x3b9c, v64
	v_fmac_f16_e32 v47, 0x3b9c, v74
	;; [unrolled: 1-line block ×12, first 2 shown]
	s_delay_alu instid0(VALU_DEP_4) | instskip(NEXT) | instid1(VALU_DEP_4)
	v_fmac_f16_e32 v46, 0xb8b4, v74
	v_mul_f16_e32 v52, 0xbb9c, v51
	v_mul_f16_e32 v53, 0x34f2, v51
	v_add_f16_e32 v51, v4, v9
	v_mul_f16_e32 v81, 0xbb9c, v6
	s_delay_alu instid0(VALU_DEP_4) | instskip(NEXT) | instid1(VALU_DEP_4)
	v_fmac_f16_e32 v52, 0x34f2, v57
	v_fmac_f16_e32 v53, 0x3b9c, v57
	v_add_f16_e32 v57, v25, v23
	v_fma_f16 v51, -0.5, v51, v54
	v_fmac_f16_e32 v81, 0xb4f2, v5
	s_delay_alu instid0(VALU_DEP_4) | instskip(NEXT) | instid1(VALU_DEP_4)
	v_add_f16_e32 v63, v60, v53
	v_fmac_f16_e32 v54, -0.5, v57
	v_sub_f16_e32 v57, v4, v25
	s_delay_alu instid0(VALU_DEP_1) | instskip(SKIP_2) | instid1(VALU_DEP_2)
	v_add_f16_e32 v87, v57, v58
	v_fmamk_f16 v58, v69, 0xbb9c, v41
	v_fmac_f16_e32 v41, 0x3b9c, v69
	v_fmac_f16_e32 v58, 0x38b4, v71
	s_delay_alu instid0(VALU_DEP_2) | instskip(NEXT) | instid1(VALU_DEP_2)
	v_fmac_f16_e32 v41, 0xb8b4, v71
	v_fmac_f16_e32 v58, 0x34f2, v82
	s_delay_alu instid0(VALU_DEP_2) | instskip(NEXT) | instid1(VALU_DEP_2)
	v_fmac_f16_e32 v41, 0x34f2, v82
	v_mul_f16_e32 v57, 0xbb9c, v58
	v_mul_f16_e32 v58, 0x34f2, v58
	s_delay_alu instid0(VALU_DEP_3) | instskip(SKIP_1) | instid1(VALU_DEP_4)
	v_mul_f16_e32 v82, 0xbb9c, v41
	v_mul_f16_e32 v41, 0xb4f2, v41
	v_fmac_f16_e32 v57, 0x34f2, v59
	s_delay_alu instid0(VALU_DEP_4) | instskip(SKIP_4) | instid1(VALU_DEP_4)
	v_fmac_f16_e32 v58, 0x3b9c, v59
	v_fmamk_f16 v59, v72, 0x3b9c, v2
	v_fmac_f16_e32 v2, 0xbb9c, v72
	v_fmac_f16_e32 v82, 0xb4f2, v40
	v_fmac_f16_e32 v41, 0x3b9c, v40
	v_fmac_f16_e32 v59, 0xb8b4, v76
	s_delay_alu instid0(VALU_DEP_4) | instskip(NEXT) | instid1(VALU_DEP_2)
	v_fmac_f16_e32 v2, 0x38b4, v76
	v_fmac_f16_e32 v59, 0x34f2, v83
	s_delay_alu instid0(VALU_DEP_2) | instskip(NEXT) | instid1(VALU_DEP_2)
	v_fmac_f16_e32 v2, 0x34f2, v83
	v_add_f16_e32 v62, v59, v52
	s_delay_alu instid0(VALU_DEP_1) | instskip(SKIP_4) | instid1(VALU_DEP_4)
	v_pack_b32_f16 v88, v62, v63
	v_fmamk_f16 v62, v73, 0x3b9c, v0
	v_fmac_f16_e32 v0, 0xbb9c, v73
	v_fmamk_f16 v63, v75, 0xbb9c, v54
	v_fmac_f16_e32 v54, 0x3b9c, v75
	v_fmac_f16_e32 v62, 0xb8b4, v78
	s_delay_alu instid0(VALU_DEP_4) | instskip(NEXT) | instid1(VALU_DEP_4)
	v_fmac_f16_e32 v0, 0x38b4, v78
	v_fmac_f16_e32 v63, 0x38b4, v79
	s_delay_alu instid0(VALU_DEP_4) | instskip(NEXT) | instid1(VALU_DEP_4)
	v_fmac_f16_e32 v54, 0xb8b4, v79
	v_fmac_f16_e32 v62, 0x34f2, v80
	s_delay_alu instid0(VALU_DEP_4) | instskip(SKIP_1) | instid1(VALU_DEP_4)
	v_fmac_f16_e32 v0, 0x34f2, v80
	v_mul_f16_e32 v80, 0xb4f2, v6
	v_fmac_f16_e32 v54, 0x34f2, v87
	v_fmac_f16_e32 v63, 0x34f2, v87
	v_add_f16_e32 v89, v62, v57
	s_delay_alu instid0(VALU_DEP_4)
	v_fmac_f16_e32 v80, 0x3b9c, v5
	v_sub_f16_e32 v5, v2, v81
	v_sub_f16_e32 v40, v54, v41
	v_add_f16_e32 v2, v2, v81
	v_add_f16_e32 v90, v63, v58
	v_sub_f16_e32 v6, v47, v80
	s_delay_alu instid0(VALU_DEP_2) | instskip(NEXT) | instid1(VALU_DEP_2)
	v_pack_b32_f16 v89, v89, v90
	v_pack_b32_f16 v5, v5, v6
	v_sub_f16_e32 v6, v0, v82
	v_add_f16_e32 v0, v0, v82
	ds_store_2addr_b32 v167, v88, v89 offset0:60 offset1:160
	v_pack_b32_f16 v6, v6, v40
	ds_store_2addr_b32 v125, v5, v6 offset0:68 offset1:168
	scratch_load_b64 v[5:6], off, off offset:216 ; 8-byte Folded Reload
	s_waitcnt vmcnt(0)
	v_mov_b32_e32 v40, v5
	s_delay_alu instid0(VALU_DEP_1) | instskip(NEXT) | instid1(VALU_DEP_1)
	v_mad_u64_u32 v[5:6], null, s10, v40, 0
	v_mad_u64_u32 v[83:84], null, s11, v40, v[6:7]
	v_sub_f16_e32 v7, v7, v16
	v_sub_f16_e32 v16, v27, v26
	;; [unrolled: 1-line block ×4, first 2 shown]
	v_fmamk_f16 v32, v79, 0x3b9c, v51
	v_fmac_f16_e32 v51, 0xbb9c, v79
	v_add_f16_e32 v7, v7, v16
	v_add_f16_e32 v16, v17, v20
	;; [unrolled: 1-line block ×3, first 2 shown]
	v_fmamk_f16 v19, v65, 0x3b9c, v56
	v_add_f16_e32 v18, v18, v27
	v_fmamk_f16 v20, v67, 0xbb9c, v55
	v_fmamk_f16 v27, v70, 0xbb9c, v49
	v_fmac_f16_e32 v29, 0x34f2, v16
	v_fmac_f16_e32 v19, 0x38b4, v64
	;; [unrolled: 1-line block ×11, first 2 shown]
	v_mul_f16_e32 v26, 0xb8b4, v19
	v_mul_f16_e32 v19, 0x3a79, v19
	v_fmac_f16_e32 v55, 0x38b4, v66
	v_fmac_f16_e32 v49, 0x38b4, v68
	;; [unrolled: 1-line block ×5, first 2 shown]
	v_sub_f16_e32 v20, v21, v3
	v_sub_f16_e32 v21, v10, v13
	v_fmac_f16_e32 v55, 0x34f2, v17
	v_fmac_f16_e32 v46, 0x34f2, v16
	v_add_f16_e32 v31, v29, v19
	v_fmac_f16_e32 v51, 0xb8b4, v75
	v_add_f16_e32 v20, v20, v21
	v_sub_f16_e32 v21, v25, v4
	v_sub_f16_e32 v25, v23, v9
	v_add_f16_e32 v3, v44, v3
	v_add_f16_e32 v4, v61, v4
	s_mov_b32 s10, 0xc3ece2a5
	s_mov_b32 s11, 0x3f35d867
	v_add_f16_e32 v21, v21, v25
	v_sub_f16_e32 v25, v11, v14
	v_add_f16_e32 v3, v3, v13
	v_add_f16_e32 v4, v4, v9
	;; [unrolled: 1-line block ×3, first 2 shown]
	v_fmac_f16_e32 v32, 0x34f2, v21
	v_add_f16_e32 v22, v22, v25
	v_sub_f16_e32 v25, v36, v8
	v_fmac_f16_e32 v51, 0x34f2, v21
	v_add_f16_e32 v8, v15, v8
	v_sub_f16_e32 v12, v37, v38
	v_fmac_f16_e32 v27, 0x34f2, v22
	v_add_f16_e32 v24, v24, v25
	v_fmamk_f16 v25, v71, 0x3b9c, v50
	v_fmac_f16_e32 v50, 0xbb9c, v71
	v_fmac_f16_e32 v49, 0x34f2, v22
	v_add_f16_e32 v3, v3, v10
	v_add_f16_e32 v4, v4, v23
	v_fmac_f16_e32 v25, 0x38b4, v69
	v_fmac_f16_e32 v50, 0xb8b4, v69
	v_add_f16_e32 v9, v9, v11
	v_add_f16_e32 v8, v8, v36
	v_mov_b32_e32 v6, v83
	v_fmac_f16_e32 v25, 0x34f2, v24
	v_fmac_f16_e32 v50, 0x34f2, v24
	v_sub_f16_e32 v11, v3, v9
	v_mad_u64_u32 v[83:84], null, s8, v151, 0
	s_delay_alu instid0(VALU_DEP_4) | instskip(SKIP_3) | instid1(VALU_DEP_4)
	v_mul_f16_e32 v28, 0xb8b4, v25
	v_mul_f16_e32 v25, 0x3a79, v25
	;; [unrolled: 1-line block ×3, first 2 shown]
	v_lshlrev_b64 v[5:6], 2, v[5:6]
	v_fmac_f16_e32 v28, 0x3a79, v27
	s_delay_alu instid0(VALU_DEP_4)
	v_fmac_f16_e32 v25, 0x38b4, v27
	v_fmamk_f16 v27, v76, 0xbb9c, v43
	v_fmac_f16_e32 v43, 0x3b9c, v76
	v_fmac_f16_e32 v16, 0x38b4, v49
	v_mov_b32_e32 v40, v84
	v_add_f16_e32 v34, v32, v25
	v_fmac_f16_e32 v27, 0xb8b4, v72
	v_fmac_f16_e32 v43, 0x38b4, v72
	v_sub_f16_e32 v13, v32, v25
	v_mad_u64_u32 v[84:85], null, s9, v151, v[40:41]
	s_delay_alu instid0(VALU_DEP_4) | instskip(NEXT) | instid1(VALU_DEP_4)
	v_fmac_f16_e32 v27, 0x34f2, v7
	v_fmac_f16_e32 v43, 0x34f2, v7
	v_mul_f16_e32 v7, 0xb8b4, v50
	v_add_co_u32 v40, vcc_lo, s0, v5
	s_delay_alu instid0(VALU_DEP_4) | instskip(SKIP_1) | instid1(VALU_DEP_4)
	v_add_f16_e32 v30, v27, v26
	v_add_co_ci_u32_e32 v85, vcc_lo, s1, v6, vcc_lo
	v_fmac_f16_e32 v7, 0xba79, v49
	v_lshlrev_b64 v[5:6], 2, v[83:84]
	s_delay_alu instid0(VALU_DEP_4) | instskip(SKIP_2) | instid1(VALU_DEP_4)
	v_pack_b32_f16 v30, v30, v31
	v_fmamk_f16 v31, v78, 0xbb9c, v1
	v_fmac_f16_e32 v1, 0x3b9c, v78
	v_add_co_u32 v5, vcc_lo, v40, v5
	s_delay_alu instid0(VALU_DEP_3) | instskip(NEXT) | instid1(VALU_DEP_3)
	v_fmac_f16_e32 v31, 0xb8b4, v73
	v_fmac_f16_e32 v1, 0x38b4, v73
	v_add_co_ci_u32_e32 v6, vcc_lo, v85, v6, vcc_lo
	s_delay_alu instid0(VALU_DEP_3) | instskip(NEXT) | instid1(VALU_DEP_3)
	v_fmac_f16_e32 v31, 0x34f2, v20
	v_fmac_f16_e32 v1, 0x34f2, v20
	v_add_f16_e32 v20, v51, v16
	s_delay_alu instid0(VALU_DEP_3) | instskip(NEXT) | instid1(VALU_DEP_1)
	v_add_f16_e32 v33, v31, v28
	v_pack_b32_f16 v33, v33, v34
	ds_store_2addr_b32 v127, v30, v33 offset0:144 offset1:244
	v_add_f16_e32 v30, v47, v80
	v_add_f16_e32 v33, v54, v41
	s_delay_alu instid0(VALU_DEP_2) | instskip(NEXT) | instid1(VALU_DEP_2)
	v_pack_b32_f16 v2, v2, v30
	v_pack_b32_f16 v0, v0, v33
	ds_store_2addr_b32 v186, v2, v0 offset0:104 offset1:204
	v_mul_f16_e32 v0, 0xb8b4, v56
	v_mul_f16_e32 v2, 0xba79, v56
	s_delay_alu instid0(VALU_DEP_2) | instskip(NEXT) | instid1(VALU_DEP_2)
	v_fmac_f16_e32 v0, 0xba79, v55
	v_fmac_f16_e32 v2, 0x38b4, v55
	s_delay_alu instid0(VALU_DEP_2) | instskip(NEXT) | instid1(VALU_DEP_2)
	v_add_f16_e32 v17, v43, v0
	v_add_f16_e32 v18, v46, v2
	v_sub_f16_e32 v0, v43, v0
	v_sub_f16_e32 v2, v46, v2
	s_delay_alu instid0(VALU_DEP_3) | instskip(SKIP_4) | instid1(VALU_DEP_4)
	v_pack_b32_f16 v17, v17, v18
	v_add_f16_e32 v18, v1, v7
	v_sub_f16_e32 v1, v1, v7
	v_sub_f16_e32 v7, v51, v16
	v_pack_b32_f16 v0, v0, v2
	v_pack_b32_f16 v18, v18, v20
	s_delay_alu instid0(VALU_DEP_3)
	v_pack_b32_f16 v1, v1, v7
	ds_store_2addr_b32 v149, v17, v18 offset0:20 offset1:120
	v_sub_f16_e32 v17, v39, v42
	ds_store_2addr_b32 v107, v0, v1 offset0:112 offset1:212
	v_add_f16_e32 v0, v3, v9
	v_add_f16_e32 v1, v4, v8
	v_pack_b32_f16 v10, v17, v12
	v_sub_f16_e32 v12, v4, v8
	s_delay_alu instid0(VALU_DEP_3) | instskip(NEXT) | instid1(VALU_DEP_2)
	v_pack_b32_f16 v0, v0, v1
	v_pack_b32_f16 v11, v11, v12
	v_sub_f16_e32 v12, v31, v28
	ds_store_b32 v148, v0 offset:800
	ds_store_2addr_b32 v108, v10, v11 offset0:64 offset1:164
	v_sub_f16_e32 v10, v27, v26
	v_sub_f16_e32 v11, v29, v19
	s_delay_alu instid0(VALU_DEP_1)
	v_pack_b32_f16 v10, v10, v11
	v_pack_b32_f16 v11, v12, v13
	v_sub_f16_e32 v12, v62, v57
	v_sub_f16_e32 v13, v63, v58
	ds_store_2addr_b32 v144, v10, v11 offset0:108 offset1:208
	v_sub_f16_e32 v10, v59, v52
	v_sub_f16_e32 v11, v60, v53
	s_delay_alu instid0(VALU_DEP_1)
	v_pack_b32_f16 v10, v10, v11
	v_pack_b32_f16 v11, v12, v13
	ds_store_2addr_b32 v183, v10, v11 offset0:152 offset1:252
	s_waitcnt lgkmcnt(0)
	s_barrier
	buffer_gl0_inv
	s_clause 0x5
	scratch_load_b32 v25, off, off offset:240
	scratch_load_b32 v26, off, off offset:244
	;; [unrolled: 1-line block ×6, first 2 shown]
	ds_load_2addr_b32 v[1:2], v148 offset1:100
	s_clause 0x9
	scratch_load_b32 v29, off, off offset:208
	scratch_load_b32 v33, off, off offset:212
	;; [unrolled: 1-line block ×10, first 2 shown]
	s_waitcnt lgkmcnt(0)
	v_lshrrev_b32_e32 v0, 16, v1
	s_waitcnt vmcnt(15)
	v_mul_f16_e32 v3, v25, v1
	s_waitcnt vmcnt(14)
	s_delay_alu instid0(VALU_DEP_1) | instskip(SKIP_1) | instid1(VALU_DEP_2)
	v_fma_f16 v3, v26, v0, -v3
	v_mul_f16_e32 v0, v25, v0
	v_cvt_f32_f16_e32 v3, v3
	s_delay_alu instid0(VALU_DEP_2) | instskip(NEXT) | instid1(VALU_DEP_2)
	v_fmac_f16_e32 v0, v26, v1
	v_cvt_f64_f32_e32 v[3:4], v3
	s_delay_alu instid0(VALU_DEP_2) | instskip(NEXT) | instid1(VALU_DEP_1)
	v_cvt_f32_f16_e32 v0, v0
	v_cvt_f64_f32_e32 v[0:1], v0
	s_delay_alu instid0(VALU_DEP_3) | instskip(NEXT) | instid1(VALU_DEP_2)
	v_mul_f64 v[9:10], v[3:4], s[10:11]
	v_mul_f64 v[0:1], v[0:1], s[10:11]
	s_delay_alu instid0(VALU_DEP_2)
	v_and_or_b32 v3, 0x1ff, v10, v9
	v_lshrrev_b32_e32 v4, 8, v10
	v_bfe_u32 v14, v10, 20, 11
	ds_load_2addr_b32 v[8:9], v160 offset0:72 offset1:172
	v_cmp_ne_u32_e32 vcc_lo, 0, v3
	v_and_or_b32 v0, 0x1ff, v1, v0
	v_cndmask_b32_e64 v3, 0, 1, vcc_lo
	s_delay_alu instid0(VALU_DEP_2) | instskip(NEXT) | instid1(VALU_DEP_2)
	v_cmp_ne_u32_e64 s2, 0, v0
	v_and_or_b32 v7, 0xffe, v4, v3
	v_sub_nc_u32_e32 v3, 0x3f1, v14
	s_delay_alu instid0(VALU_DEP_3) | instskip(NEXT) | instid1(VALU_DEP_3)
	v_cndmask_b32_e64 v0, 0, 1, s2
	v_or_b32_e32 v4, 0x1000, v7
	s_delay_alu instid0(VALU_DEP_3) | instskip(SKIP_2) | instid1(VALU_DEP_2)
	v_med3_i32 v3, v3, 0, 13
	s_waitcnt lgkmcnt(0)
	v_lshrrev_b32_e32 v19, 16, v9
	v_lshrrev_b32_e32 v18, v3, v4
	s_delay_alu instid0(VALU_DEP_1) | instskip(NEXT) | instid1(VALU_DEP_1)
	v_lshlrev_b32_e32 v3, v3, v18
	v_cmp_ne_u32_e64 s1, v3, v4
	s_waitcnt vmcnt(13)
	v_mul_f16_e32 v3, v27, v9
	s_waitcnt vmcnt(12)
	s_delay_alu instid0(VALU_DEP_1) | instskip(NEXT) | instid1(VALU_DEP_1)
	v_fma_f16 v3, v28, v19, -v3
	v_cvt_f32_f16_e32 v3, v3
	s_delay_alu instid0(VALU_DEP_1) | instskip(NEXT) | instid1(VALU_DEP_1)
	v_cvt_f64_f32_e32 v[3:4], v3
	v_mul_f64 v[12:13], v[3:4], s[10:11]
	s_delay_alu instid0(VALU_DEP_1)
	v_and_or_b32 v3, 0x1ff, v13, v12
	v_lshrrev_b32_e32 v4, 8, v13
	v_bfe_u32 v21, v13, 20, 11
	ds_load_2addr_b32 v[11:12], v128 offset0:88 offset1:188
	v_cmp_ne_u32_e32 vcc_lo, 0, v3
	v_cndmask_b32_e64 v3, 0, 1, vcc_lo
	s_delay_alu instid0(VALU_DEP_1) | instskip(SKIP_1) | instid1(VALU_DEP_2)
	v_and_or_b32 v20, 0xffe, v4, v3
	v_sub_nc_u32_e32 v3, 0x3f1, v21
	v_or_b32_e32 v4, 0x1000, v20
	s_delay_alu instid0(VALU_DEP_2) | instskip(SKIP_2) | instid1(VALU_DEP_2)
	v_med3_i32 v3, v3, 0, 13
	s_waitcnt lgkmcnt(0)
	v_lshrrev_b32_e32 v17, 16, v11
	v_lshrrev_b32_e32 v22, v3, v4
	s_delay_alu instid0(VALU_DEP_1) | instskip(NEXT) | instid1(VALU_DEP_1)
	v_lshlrev_b32_e32 v3, v3, v22
	v_cmp_ne_u32_e64 s0, v3, v4
	s_waitcnt vmcnt(11)
	v_mul_f16_e32 v3, v31, v11
	s_waitcnt vmcnt(10)
	s_delay_alu instid0(VALU_DEP_1) | instskip(NEXT) | instid1(VALU_DEP_1)
	v_fma_f16 v3, v34, v17, -v3
	v_cvt_f32_f16_e32 v3, v3
	s_delay_alu instid0(VALU_DEP_1) | instskip(NEXT) | instid1(VALU_DEP_1)
	v_cvt_f64_f32_e32 v[3:4], v3
	v_mul_f64 v[3:4], v[3:4], s[10:11]
	s_delay_alu instid0(VALU_DEP_1) | instskip(SKIP_1) | instid1(VALU_DEP_2)
	v_and_or_b32 v3, 0x1ff, v4, v3
	v_lshrrev_b32_e32 v15, 8, v4
	v_cmp_ne_u32_e32 vcc_lo, 0, v3
	v_cndmask_b32_e64 v3, 0, 1, vcc_lo
	s_delay_alu instid0(VALU_DEP_1) | instskip(SKIP_2) | instid1(VALU_DEP_3)
	v_and_or_b32 v3, 0xffe, v15, v3
	v_bfe_u32 v15, v4, 20, 11
	v_lshrrev_b32_e32 v4, 16, v4
	v_or_b32_e32 v24, 0x1000, v3
	s_delay_alu instid0(VALU_DEP_3) | instskip(NEXT) | instid1(VALU_DEP_1)
	v_sub_nc_u32_e32 v16, 0x3f1, v15
	v_med3_i32 v23, v16, 0, 13
	s_delay_alu instid0(VALU_DEP_1) | instskip(NEXT) | instid1(VALU_DEP_1)
	v_lshrrev_b32_e32 v16, v23, v24
	v_lshlrev_b32_e32 v23, v23, v16
	s_delay_alu instid0(VALU_DEP_1) | instskip(SKIP_1) | instid1(VALU_DEP_1)
	v_cmp_ne_u32_e32 vcc_lo, v23, v24
	v_lshrrev_b32_e32 v23, 8, v1
	v_and_or_b32 v0, 0xffe, v23, v0
	v_bfe_u32 v23, v1, 20, 11
	v_lshrrev_b32_e32 v1, 16, v1
	s_delay_alu instid0(VALU_DEP_3) | instskip(NEXT) | instid1(VALU_DEP_3)
	v_or_b32_e32 v25, 0x1000, v0
	v_sub_nc_u32_e32 v24, 0x3f1, v23
	v_add_nc_u32_e32 v23, 0xfffffc10, v23
	s_delay_alu instid0(VALU_DEP_2) | instskip(NEXT) | instid1(VALU_DEP_1)
	v_med3_i32 v24, v24, 0, 13
	v_lshrrev_b32_e32 v26, v24, v25
	s_delay_alu instid0(VALU_DEP_1) | instskip(NEXT) | instid1(VALU_DEP_1)
	v_lshlrev_b32_e32 v24, v24, v26
	v_cmp_ne_u32_e64 s2, v24, v25
	v_lshl_or_b32 v25, v23, 12, v0
	s_delay_alu instid0(VALU_DEP_2) | instskip(SKIP_1) | instid1(VALU_DEP_2)
	v_cndmask_b32_e64 v24, 0, 1, s2
	v_cmp_gt_i32_e64 s2, 1, v23
	v_or_b32_e32 v24, v26, v24
	s_delay_alu instid0(VALU_DEP_1) | instskip(NEXT) | instid1(VALU_DEP_1)
	v_cndmask_b32_e64 v24, v25, v24, s2
	v_and_b32_e32 v25, 7, v24
	s_delay_alu instid0(VALU_DEP_1) | instskip(SKIP_4) | instid1(VALU_DEP_4)
	v_cmp_lt_i32_e64 s2, 5, v25
	v_cmp_eq_u32_e64 s3, 3, v25
	v_cndmask_b32_e64 v25, 0, 1, s1
	v_cmp_ne_u32_e64 s1, 0, v0
	v_add_nc_u32_e32 v0, 0xfffffc10, v14
	s_or_b32 s2, s3, s2
	s_delay_alu instid0(VALU_DEP_3) | instskip(SKIP_1) | instid1(VALU_DEP_3)
	v_or_b32_e32 v18, v18, v25
	v_cmp_ne_u32_e64 s3, 0, v7
	v_lshl_or_b32 v14, v0, 12, v7
	v_cmp_gt_i32_e64 s4, 1, v0
	s_delay_alu instid0(VALU_DEP_1) | instskip(SKIP_3) | instid1(VALU_DEP_4)
	v_cndmask_b32_e64 v14, v14, v18, s4
	v_lshrrev_b32_e32 v18, 2, v24
	v_cndmask_b32_e64 v24, 0, 1, s1
	v_cmp_eq_u32_e64 s1, 0x40f, v23
	v_lshrrev_b32_e32 v7, 2, v14
	s_delay_alu instid0(VALU_DEP_4) | instskip(SKIP_4) | instid1(VALU_DEP_4)
	v_add_co_ci_u32_e64 v18, s2, 0, v18, s2
	v_cmp_gt_i32_e64 s2, 31, v23
	v_lshl_or_b32 v24, v24, 9, 0x7c00
	v_and_b32_e32 v23, 7, v14
	v_cndmask_b32_e64 v14, 0, 1, s3
	v_cndmask_b32_e64 v18, 0x7c00, v18, s2
	s_delay_alu instid0(VALU_DEP_3) | instskip(NEXT) | instid1(VALU_DEP_3)
	v_cmp_eq_u32_e64 s2, 3, v23
	v_lshl_or_b32 v14, v14, 9, 0x7c00
	s_delay_alu instid0(VALU_DEP_3) | instskip(SKIP_1) | instid1(VALU_DEP_2)
	v_cndmask_b32_e64 v18, v18, v24, s1
	v_cmp_lt_i32_e64 s1, 5, v23
	v_and_or_b32 v1, 0x8000, v1, v18
	s_delay_alu instid0(VALU_DEP_2) | instskip(NEXT) | instid1(SALU_CYCLE_1)
	s_or_b32 s1, s2, s1
	v_add_co_ci_u32_e64 v7, s1, 0, v7, s1
	v_cmp_gt_i32_e64 s1, 31, v0
	s_delay_alu instid0(VALU_DEP_3) | instskip(NEXT) | instid1(VALU_DEP_2)
	v_and_b32_e32 v1, 0xffff, v1
	v_cndmask_b32_e64 v7, 0x7c00, v7, s1
	v_cmp_eq_u32_e64 s1, 0x40f, v0
	s_delay_alu instid0(VALU_DEP_1) | instskip(SKIP_2) | instid1(SALU_CYCLE_1)
	v_cndmask_b32_e64 v0, v7, v14, s1
	v_lshrrev_b32_e32 v7, 16, v10
	s_mul_i32 s1, s9, 0x4b0
	s_add_i32 s12, s12, s1
	s_delay_alu instid0(VALU_DEP_1) | instskip(NEXT) | instid1(VALU_DEP_1)
	v_and_or_b32 v0, 0x8000, v7, v0
	v_lshl_or_b32 v0, v0, 16, v1
	global_store_b32 v[5:6], v0, off
	v_add_co_u32 v0, s1, v5, s13
	v_mul_f16_e32 v5, v27, v19
	v_add_co_ci_u32_e64 v1, s1, s12, v6, s1
	s_delay_alu instid0(VALU_DEP_2) | instskip(NEXT) | instid1(VALU_DEP_1)
	v_fmac_f16_e32 v5, v28, v9
	v_cvt_f32_f16_e32 v5, v5
	s_delay_alu instid0(VALU_DEP_1) | instskip(NEXT) | instid1(VALU_DEP_1)
	v_cvt_f64_f32_e32 v[5:6], v5
	v_mul_f64 v[5:6], v[5:6], s[10:11]
	s_delay_alu instid0(VALU_DEP_1) | instskip(SKIP_1) | instid1(VALU_DEP_2)
	v_and_or_b32 v5, 0x1ff, v6, v5
	v_lshrrev_b32_e32 v7, 8, v6
	v_cmp_ne_u32_e64 s1, 0, v5
	s_delay_alu instid0(VALU_DEP_1) | instskip(NEXT) | instid1(VALU_DEP_1)
	v_cndmask_b32_e64 v5, 0, 1, s1
	v_and_or_b32 v5, 0xffe, v7, v5
	v_bfe_u32 v7, v6, 20, 11
	v_lshrrev_b32_e32 v6, 16, v6
	s_delay_alu instid0(VALU_DEP_3) | instskip(NEXT) | instid1(VALU_DEP_3)
	v_or_b32_e32 v10, 0x1000, v5
	v_sub_nc_u32_e32 v9, 0x3f1, v7
	v_add_nc_u32_e32 v7, 0xfffffc10, v7
	s_delay_alu instid0(VALU_DEP_2) | instskip(NEXT) | instid1(VALU_DEP_1)
	v_med3_i32 v9, v9, 0, 13
	v_lshrrev_b32_e32 v14, v9, v10
	s_delay_alu instid0(VALU_DEP_1) | instskip(NEXT) | instid1(VALU_DEP_1)
	v_lshlrev_b32_e32 v9, v9, v14
	v_cmp_ne_u32_e64 s1, v9, v10
	v_lshl_or_b32 v10, v7, 12, v5
	s_delay_alu instid0(VALU_DEP_2) | instskip(SKIP_1) | instid1(VALU_DEP_2)
	v_cndmask_b32_e64 v9, 0, 1, s1
	v_cmp_gt_i32_e64 s1, 1, v7
	v_or_b32_e32 v9, v14, v9
	s_delay_alu instid0(VALU_DEP_1) | instskip(NEXT) | instid1(VALU_DEP_1)
	v_cndmask_b32_e64 v9, v10, v9, s1
	v_and_b32_e32 v10, 7, v9
	v_lshrrev_b32_e32 v9, 2, v9
	s_delay_alu instid0(VALU_DEP_2) | instskip(SKIP_4) | instid1(VALU_DEP_4)
	v_cmp_lt_i32_e64 s1, 5, v10
	v_cmp_eq_u32_e64 s2, 3, v10
	v_cndmask_b32_e64 v10, 0, 1, s0
	v_cmp_ne_u32_e64 s0, 0, v5
	v_add_nc_u32_e32 v5, 0xfffffc10, v21
	s_or_b32 s1, s2, s1
	s_delay_alu instid0(VALU_DEP_3) | instskip(SKIP_1) | instid1(VALU_DEP_3)
	v_or_b32_e32 v10, v22, v10
	v_add_co_ci_u32_e64 v9, s1, 0, v9, s1
	v_lshl_or_b32 v14, v5, 12, v20
	v_cmp_gt_i32_e64 s3, 1, v5
	v_cmp_gt_i32_e64 s1, 31, v7
	v_cmp_ne_u32_e64 s2, 0, v20
	s_delay_alu instid0(VALU_DEP_3) | instskip(SKIP_1) | instid1(VALU_DEP_4)
	v_cndmask_b32_e64 v10, v14, v10, s3
	v_cndmask_b32_e64 v14, 0, 1, s0
	;; [unrolled: 1-line block ×3, first 2 shown]
	v_cmp_eq_u32_e64 s0, 0x40f, v7
	s_delay_alu instid0(VALU_DEP_3) | instskip(NEXT) | instid1(VALU_DEP_1)
	v_lshl_or_b32 v14, v14, 9, 0x7c00
	v_cndmask_b32_e64 v7, v9, v14, s0
	v_and_b32_e32 v9, 7, v10
	s_delay_alu instid0(VALU_DEP_2) | instskip(NEXT) | instid1(VALU_DEP_2)
	v_and_or_b32 v6, 0x8000, v6, v7
	v_cmp_lt_i32_e64 s0, 5, v9
	v_cmp_eq_u32_e64 s1, 3, v9
	v_lshrrev_b32_e32 v9, 2, v10
	v_cndmask_b32_e64 v10, 0, 1, s2
	v_and_b32_e32 v6, 0xffff, v6
	s_delay_alu instid0(VALU_DEP_4)
	s_or_b32 s0, s1, s0
	s_delay_alu instid0(VALU_DEP_3) | instid1(SALU_CYCLE_1)
	v_add_co_ci_u32_e64 v9, s0, 0, v9, s0
	v_cmp_gt_i32_e64 s0, 31, v5
	v_lshl_or_b32 v10, v10, 9, 0x7c00
	s_delay_alu instid0(VALU_DEP_2) | instskip(SKIP_1) | instid1(VALU_DEP_1)
	v_cndmask_b32_e64 v9, 0x7c00, v9, s0
	v_cmp_eq_u32_e64 s0, 0x40f, v5
	v_cndmask_b32_e64 v5, v9, v10, s0
	v_lshrrev_b32_e32 v9, 16, v13
	v_add_co_u32 v21, s0, v0, s13
	s_delay_alu instid0(VALU_DEP_1) | instskip(NEXT) | instid1(VALU_DEP_3)
	v_add_co_ci_u32_e64 v22, s0, s12, v1, s0
	v_and_or_b32 v5, 0x8000, v9, v5
	ds_load_2addr_b32 v[9:10], v111 offset0:48 offset1:148
	v_lshl_or_b32 v5, v5, 16, v6
	ds_load_2addr_b32 v[6:7], v157 offset0:32 offset1:132
	global_store_b32 v[0:1], v5, off
	s_waitcnt lgkmcnt(0)
	v_lshrrev_b32_e32 v24, 16, v7
	s_waitcnt vmcnt(9)
	v_mul_f16_e32 v0, v29, v7
	s_waitcnt vmcnt(8)
	s_delay_alu instid0(VALU_DEP_1) | instskip(NEXT) | instid1(VALU_DEP_1)
	v_fma_f16 v0, v33, v24, -v0
	v_cvt_f32_f16_e32 v0, v0
	s_delay_alu instid0(VALU_DEP_1) | instskip(NEXT) | instid1(VALU_DEP_1)
	v_cvt_f64_f32_e32 v[0:1], v0
	v_mul_f64 v[13:14], v[0:1], s[10:11]
	s_delay_alu instid0(VALU_DEP_1)
	v_and_or_b32 v0, 0x1ff, v14, v13
	v_lshrrev_b32_e32 v1, 8, v14
	v_bfe_u32 v27, v14, 20, 11
	v_lshrrev_b32_e32 v13, 16, v9
	v_lshrrev_b32_e32 v14, 16, v14
	v_cmp_ne_u32_e64 s0, 0, v0
	s_delay_alu instid0(VALU_DEP_1) | instskip(NEXT) | instid1(VALU_DEP_1)
	v_cndmask_b32_e64 v0, 0, 1, s0
	v_and_or_b32 v26, 0xffe, v1, v0
	v_sub_nc_u32_e32 v0, 0x3f1, v27
	s_delay_alu instid0(VALU_DEP_2) | instskip(NEXT) | instid1(VALU_DEP_2)
	v_or_b32_e32 v1, 0x1000, v26
	v_med3_i32 v0, v0, 0, 13
	s_delay_alu instid0(VALU_DEP_1) | instskip(NEXT) | instid1(VALU_DEP_1)
	v_lshrrev_b32_e32 v28, v0, v1
	v_lshlrev_b32_e32 v0, v0, v28
	s_delay_alu instid0(VALU_DEP_1) | instskip(SKIP_3) | instid1(VALU_DEP_1)
	v_cmp_ne_u32_e64 s2, v0, v1
	s_waitcnt vmcnt(7)
	v_mul_f16_e32 v0, v32, v9
	s_waitcnt vmcnt(6)
	v_fma_f16 v0, v30, v13, -v0
	s_delay_alu instid0(VALU_DEP_1) | instskip(NEXT) | instid1(VALU_DEP_1)
	v_cvt_f32_f16_e32 v0, v0
	v_cvt_f64_f32_e32 v[0:1], v0
	s_delay_alu instid0(VALU_DEP_1) | instskip(NEXT) | instid1(VALU_DEP_1)
	v_mul_f64 v[0:1], v[0:1], s[10:11]
	v_and_or_b32 v0, 0x1ff, v1, v0
	v_lshrrev_b32_e32 v5, 8, v1
	v_bfe_u32 v19, v1, 20, 11
	v_lshrrev_b32_e32 v1, 16, v1
	s_delay_alu instid0(VALU_DEP_4) | instskip(NEXT) | instid1(VALU_DEP_1)
	v_cmp_ne_u32_e64 s0, 0, v0
	v_cndmask_b32_e64 v0, 0, 1, s0
	s_delay_alu instid0(VALU_DEP_1) | instskip(SKIP_1) | instid1(VALU_DEP_2)
	v_and_or_b32 v0, 0xffe, v5, v0
	v_sub_nc_u32_e32 v5, 0x3f1, v19
	v_or_b32_e32 v18, 0x1000, v0
	s_delay_alu instid0(VALU_DEP_2) | instskip(NEXT) | instid1(VALU_DEP_1)
	v_med3_i32 v5, v5, 0, 13
	v_lshrrev_b32_e32 v20, v5, v18
	s_delay_alu instid0(VALU_DEP_1) | instskip(NEXT) | instid1(VALU_DEP_1)
	v_lshlrev_b32_e32 v5, v5, v20
	v_cmp_ne_u32_e64 s1, v5, v18
	v_mul_f16_e32 v5, v31, v17
	scratch_load_b32 v31, off, off offset:192 ; 4-byte Folded Reload
	v_fmac_f16_e32 v5, v34, v11
	scratch_load_b32 v34, off, off offset:188 ; 4-byte Folded Reload
	v_cvt_f32_f16_e32 v5, v5
	s_delay_alu instid0(VALU_DEP_1) | instskip(NEXT) | instid1(VALU_DEP_1)
	v_cvt_f64_f32_e32 v[17:18], v5
	v_mul_f64 v[17:18], v[17:18], s[10:11]
	s_delay_alu instid0(VALU_DEP_1) | instskip(SKIP_1) | instid1(VALU_DEP_2)
	v_and_or_b32 v5, 0x1ff, v18, v17
	v_lshrrev_b32_e32 v11, 8, v18
	v_cmp_ne_u32_e64 s0, 0, v5
	s_delay_alu instid0(VALU_DEP_1) | instskip(NEXT) | instid1(VALU_DEP_1)
	v_cndmask_b32_e64 v5, 0, 1, s0
	v_and_or_b32 v5, 0xffe, v11, v5
	v_bfe_u32 v11, v18, 20, 11
	s_delay_alu instid0(VALU_DEP_2) | instskip(NEXT) | instid1(VALU_DEP_2)
	v_or_b32_e32 v23, 0x1000, v5
	v_sub_nc_u32_e32 v17, 0x3f1, v11
	v_add_nc_u32_e32 v11, 0xfffffc10, v11
	s_delay_alu instid0(VALU_DEP_2) | instskip(NEXT) | instid1(VALU_DEP_1)
	v_med3_i32 v17, v17, 0, 13
	v_lshrrev_b32_e32 v25, v17, v23
	s_delay_alu instid0(VALU_DEP_1) | instskip(NEXT) | instid1(VALU_DEP_1)
	v_lshlrev_b32_e32 v17, v17, v25
	v_cmp_ne_u32_e64 s0, v17, v23
	v_lshl_or_b32 v23, v11, 12, v5
	s_delay_alu instid0(VALU_DEP_2) | instskip(SKIP_1) | instid1(VALU_DEP_2)
	v_cndmask_b32_e64 v17, 0, 1, s0
	v_cmp_gt_i32_e64 s0, 1, v11
	v_or_b32_e32 v17, v25, v17
	s_delay_alu instid0(VALU_DEP_1) | instskip(NEXT) | instid1(VALU_DEP_1)
	v_cndmask_b32_e64 v17, v23, v17, s0
	v_and_b32_e32 v23, 7, v17
	s_delay_alu instid0(VALU_DEP_1) | instskip(SKIP_4) | instid1(VALU_DEP_4)
	v_cmp_lt_i32_e64 s0, 5, v23
	v_cmp_eq_u32_e64 s3, 3, v23
	v_cndmask_b32_e64 v23, 0, 1, vcc_lo
	v_cmp_ne_u32_e32 vcc_lo, 0, v5
	v_add_nc_u32_e32 v5, 0xfffffc10, v15
	s_or_b32 s0, s3, s0
	s_delay_alu instid0(VALU_DEP_3) | instskip(SKIP_1) | instid1(VALU_DEP_3)
	v_or_b32_e32 v16, v16, v23
	v_cmp_ne_u32_e64 s3, 0, v3
	v_lshl_or_b32 v15, v5, 12, v3
	v_cmp_gt_i32_e64 s4, 1, v5
	v_lshrrev_b32_e32 v3, 16, v18
	s_delay_alu instid0(VALU_DEP_2) | instskip(SKIP_3) | instid1(VALU_DEP_3)
	v_cndmask_b32_e64 v15, v15, v16, s4
	v_lshrrev_b32_e32 v16, 2, v17
	v_cndmask_b32_e64 v17, 0, 1, vcc_lo
	v_cmp_eq_u32_e32 vcc_lo, 0x40f, v11
	v_add_co_ci_u32_e64 v16, s0, 0, v16, s0
	v_cmp_gt_i32_e64 s0, 31, v11
	s_delay_alu instid0(VALU_DEP_4) | instskip(NEXT) | instid1(VALU_DEP_2)
	v_lshl_or_b32 v17, v17, 9, 0x7c00
	v_cndmask_b32_e64 v16, 0x7c00, v16, s0
	s_delay_alu instid0(VALU_DEP_1) | instskip(SKIP_1) | instid1(VALU_DEP_2)
	v_dual_cndmask_b32 v11, v16, v17 :: v_dual_and_b32 v16, 7, v15
	v_lshrrev_b32_e32 v15, 2, v15
	v_and_or_b32 v3, 0x8000, v3, v11
	s_delay_alu instid0(VALU_DEP_3) | instskip(SKIP_2) | instid1(VALU_DEP_4)
	v_cmp_lt_i32_e32 vcc_lo, 5, v16
	v_cmp_eq_u32_e64 s0, 3, v16
	v_cndmask_b32_e64 v16, 0, 1, s3
	v_and_b32_e32 v3, 0xffff, v3
	s_delay_alu instid0(VALU_DEP_3) | instskip(NEXT) | instid1(VALU_DEP_2)
	s_or_b32 vcc_lo, s0, vcc_lo
	v_lshl_or_b32 v16, v16, 9, 0x7c00
	v_add_co_ci_u32_e32 v15, vcc_lo, 0, v15, vcc_lo
	v_cmp_gt_i32_e32 vcc_lo, 31, v5
	s_delay_alu instid0(VALU_DEP_2) | instskip(SKIP_1) | instid1(VALU_DEP_2)
	v_cndmask_b32_e32 v15, 0x7c00, v15, vcc_lo
	v_cmp_eq_u32_e32 vcc_lo, 0x40f, v5
	v_cndmask_b32_e32 v5, v15, v16, vcc_lo
	v_add_co_u32 v15, vcc_lo, v21, s13
	v_add_co_ci_u32_e32 v16, vcc_lo, s12, v22, vcc_lo
	s_delay_alu instid0(VALU_DEP_3) | instskip(NEXT) | instid1(VALU_DEP_1)
	v_and_or_b32 v4, 0x8000, v4, v5
	v_lshl_or_b32 v3, v4, 16, v3
	ds_load_2addr_b32 v[4:5], v149 offset0:120 offset1:220
	global_store_b32 v[21:22], v3, off
	s_waitcnt lgkmcnt(0)
	v_lshrrev_b32_e32 v23, 16, v5
	s_waitcnt vmcnt(7)
	v_mul_f16_e32 v3, v35, v5
	s_waitcnt vmcnt(1)
	s_delay_alu instid0(VALU_DEP_1) | instskip(NEXT) | instid1(VALU_DEP_1)
	v_fma_f16 v3, v31, v23, -v3
	v_cvt_f32_f16_e32 v3, v3
	s_delay_alu instid0(VALU_DEP_1) | instskip(NEXT) | instid1(VALU_DEP_1)
	v_cvt_f64_f32_e32 v[17:18], v3
	v_mul_f64 v[17:18], v[17:18], s[10:11]
	s_delay_alu instid0(VALU_DEP_1) | instskip(SKIP_2) | instid1(VALU_DEP_3)
	v_and_or_b32 v3, 0x1ff, v18, v17
	v_lshrrev_b32_e32 v11, 8, v18
	v_bfe_u32 v21, v18, 20, 11
	v_cmp_ne_u32_e32 vcc_lo, 0, v3
	v_cndmask_b32_e64 v3, 0, 1, vcc_lo
	s_delay_alu instid0(VALU_DEP_1) | instskip(NEXT) | instid1(VALU_DEP_4)
	v_and_or_b32 v3, 0xffe, v11, v3
	v_sub_nc_u32_e32 v11, 0x3f1, v21
	s_delay_alu instid0(VALU_DEP_2) | instskip(NEXT) | instid1(VALU_DEP_2)
	v_or_b32_e32 v17, 0x1000, v3
	v_med3_i32 v11, v11, 0, 13
	s_delay_alu instid0(VALU_DEP_1) | instskip(NEXT) | instid1(VALU_DEP_1)
	v_lshrrev_b32_e32 v22, v11, v17
	v_lshlrev_b32_e32 v11, v11, v22
	s_delay_alu instid0(VALU_DEP_1) | instskip(SKIP_1) | instid1(VALU_DEP_1)
	v_cmp_ne_u32_e64 s0, v11, v17
	v_mul_f16_e32 v11, v29, v24
	v_fmac_f16_e32 v11, v33, v7
	scratch_load_b32 v33, off, off offset:176 ; 4-byte Folded Reload
	v_cvt_f32_f16_e32 v7, v11
	s_delay_alu instid0(VALU_DEP_1) | instskip(NEXT) | instid1(VALU_DEP_1)
	v_cvt_f64_f32_e32 v[24:25], v7
	v_mul_f64 v[24:25], v[24:25], s[10:11]
	s_delay_alu instid0(VALU_DEP_1) | instskip(SKIP_1) | instid1(VALU_DEP_2)
	v_and_or_b32 v7, 0x1ff, v25, v24
	v_lshrrev_b32_e32 v11, 8, v25
	v_cmp_ne_u32_e32 vcc_lo, 0, v7
	v_cndmask_b32_e64 v7, 0, 1, vcc_lo
	s_delay_alu instid0(VALU_DEP_1) | instskip(SKIP_1) | instid1(VALU_DEP_2)
	v_and_or_b32 v7, 0xffe, v11, v7
	v_bfe_u32 v11, v25, 20, 11
	v_or_b32_e32 v24, 0x1000, v7
	s_delay_alu instid0(VALU_DEP_2) | instskip(SKIP_1) | instid1(VALU_DEP_2)
	v_sub_nc_u32_e32 v17, 0x3f1, v11
	v_add_nc_u32_e32 v11, 0xfffffc10, v11
	v_med3_i32 v17, v17, 0, 13
	s_delay_alu instid0(VALU_DEP_1) | instskip(NEXT) | instid1(VALU_DEP_1)
	v_lshrrev_b32_e32 v29, v17, v24
	v_lshlrev_b32_e32 v17, v17, v29
	s_delay_alu instid0(VALU_DEP_1) | instskip(SKIP_3) | instid1(VALU_DEP_2)
	v_cmp_ne_u32_e32 vcc_lo, v17, v24
	v_lshl_or_b32 v24, v11, 12, v7
	v_cndmask_b32_e64 v17, 0, 1, vcc_lo
	v_cmp_gt_i32_e32 vcc_lo, 1, v11
	v_or_b32_e32 v17, v29, v17
	s_delay_alu instid0(VALU_DEP_1) | instskip(NEXT) | instid1(VALU_DEP_1)
	v_cndmask_b32_e32 v17, v24, v17, vcc_lo
	v_and_b32_e32 v24, 7, v17
	v_lshrrev_b32_e32 v17, 2, v17
	s_delay_alu instid0(VALU_DEP_2) | instskip(SKIP_4) | instid1(VALU_DEP_4)
	v_cmp_lt_i32_e32 vcc_lo, 5, v24
	v_cmp_eq_u32_e64 s3, 3, v24
	v_cndmask_b32_e64 v24, 0, 1, s2
	v_cmp_ne_u32_e64 s2, 0, v7
	v_add_nc_u32_e32 v7, 0xfffffc10, v27
	s_or_b32 vcc_lo, s3, vcc_lo
	s_delay_alu instid0(VALU_DEP_3) | instskip(SKIP_1) | instid1(VALU_DEP_3)
	v_or_b32_e32 v24, v28, v24
	v_add_co_ci_u32_e32 v17, vcc_lo, 0, v17, vcc_lo
	v_lshl_or_b32 v27, v7, 12, v26
	v_cmp_gt_i32_e64 s4, 1, v7
	v_cmp_gt_i32_e32 vcc_lo, 31, v11
	v_cmp_ne_u32_e64 s3, 0, v26
	s_delay_alu instid0(VALU_DEP_3) | instskip(SKIP_3) | instid1(VALU_DEP_3)
	v_cndmask_b32_e64 v24, v27, v24, s4
	v_cndmask_b32_e64 v27, 0, 1, s2
	v_cndmask_b32_e32 v17, 0x7c00, v17, vcc_lo
	v_cmp_eq_u32_e32 vcc_lo, 0x40f, v11
	v_lshl_or_b32 v27, v27, 9, 0x7c00
	s_delay_alu instid0(VALU_DEP_1) | instskip(SKIP_3) | instid1(VALU_DEP_3)
	v_cndmask_b32_e32 v11, v17, v27, vcc_lo
	v_lshrrev_b32_e32 v17, 16, v25
	v_and_b32_e32 v25, 7, v24
	v_lshrrev_b32_e32 v24, 2, v24
	v_and_or_b32 v11, 0x8000, v17, v11
	s_delay_alu instid0(VALU_DEP_3) | instskip(SKIP_2) | instid1(VALU_DEP_4)
	v_cmp_lt_i32_e32 vcc_lo, 5, v25
	v_cmp_eq_u32_e64 s2, 3, v25
	v_cndmask_b32_e64 v25, 0, 1, s3
	v_and_b32_e32 v11, 0xffff, v11
	s_delay_alu instid0(VALU_DEP_3) | instskip(NEXT) | instid1(VALU_DEP_2)
	s_or_b32 vcc_lo, s2, vcc_lo
	v_lshl_or_b32 v25, v25, 9, 0x7c00
	v_add_co_ci_u32_e32 v24, vcc_lo, 0, v24, vcc_lo
	v_cmp_gt_i32_e32 vcc_lo, 31, v7
	s_delay_alu instid0(VALU_DEP_2) | instskip(SKIP_1) | instid1(VALU_DEP_2)
	v_cndmask_b32_e32 v24, 0x7c00, v24, vcc_lo
	v_cmp_eq_u32_e32 vcc_lo, 0x40f, v7
	v_cndmask_b32_e32 v7, v24, v25, vcc_lo
	s_delay_alu instid0(VALU_DEP_1) | instskip(SKIP_1) | instid1(VALU_DEP_2)
	v_and_or_b32 v7, 0x8000, v14, v7
	v_add_co_u32 v14, vcc_lo, v15, s13
	v_lshl_or_b32 v7, v7, 16, v11
	global_store_b32 v[15:16], v7, off
	v_mul_f16_e32 v7, v32, v13
	scratch_load_b32 v32, off, off offset:184 ; 4-byte Folded Reload
	v_add_co_ci_u32_e32 v15, vcc_lo, s12, v16, vcc_lo
	v_fmac_f16_e32 v7, v30, v9
	s_delay_alu instid0(VALU_DEP_1) | instskip(NEXT) | instid1(VALU_DEP_1)
	v_cvt_f32_f16_e32 v7, v7
	v_cvt_f64_f32_e32 v[16:17], v7
	s_delay_alu instid0(VALU_DEP_1) | instskip(NEXT) | instid1(VALU_DEP_1)
	v_mul_f64 v[16:17], v[16:17], s[10:11]
	v_and_or_b32 v7, 0x1ff, v17, v16
	v_lshrrev_b32_e32 v9, 8, v17
	s_delay_alu instid0(VALU_DEP_2) | instskip(SKIP_1) | instid1(VALU_DEP_1)
	v_cmp_ne_u32_e32 vcc_lo, 0, v7
	v_cndmask_b32_e64 v7, 0, 1, vcc_lo
	v_and_or_b32 v7, 0xffe, v9, v7
	v_bfe_u32 v9, v17, 20, 11
	s_delay_alu instid0(VALU_DEP_2) | instskip(NEXT) | instid1(VALU_DEP_2)
	v_or_b32_e32 v13, 0x1000, v7
	v_sub_nc_u32_e32 v11, 0x3f1, v9
	v_add_nc_u32_e32 v9, 0xfffffc10, v9
	s_delay_alu instid0(VALU_DEP_2) | instskip(NEXT) | instid1(VALU_DEP_1)
	v_med3_i32 v11, v11, 0, 13
	v_lshrrev_b32_e32 v16, v11, v13
	s_delay_alu instid0(VALU_DEP_1) | instskip(NEXT) | instid1(VALU_DEP_1)
	v_lshlrev_b32_e32 v11, v11, v16
	v_cmp_ne_u32_e32 vcc_lo, v11, v13
	v_lshl_or_b32 v13, v9, 12, v7
	v_cndmask_b32_e64 v11, 0, 1, vcc_lo
	v_cmp_gt_i32_e32 vcc_lo, 1, v9
	s_delay_alu instid0(VALU_DEP_2) | instskip(NEXT) | instid1(VALU_DEP_1)
	v_or_b32_e32 v11, v16, v11
	v_cndmask_b32_e32 v11, v13, v11, vcc_lo
	s_delay_alu instid0(VALU_DEP_1) | instskip(SKIP_1) | instid1(VALU_DEP_2)
	v_and_b32_e32 v13, 7, v11
	v_lshrrev_b32_e32 v11, 2, v11
	v_cmp_lt_i32_e32 vcc_lo, 5, v13
	v_cmp_eq_u32_e64 s2, 3, v13
	v_cndmask_b32_e64 v13, 0, 1, s1
	v_cmp_ne_u32_e64 s1, 0, v7
	v_add_nc_u32_e32 v7, 0xfffffc10, v19
	s_delay_alu instid0(VALU_DEP_4) | instskip(NEXT) | instid1(VALU_DEP_3)
	s_or_b32 vcc_lo, s2, vcc_lo
	v_or_b32_e32 v13, v20, v13
	v_add_co_ci_u32_e32 v11, vcc_lo, 0, v11, vcc_lo
	s_delay_alu instid0(VALU_DEP_3) | instskip(SKIP_4) | instid1(VALU_DEP_4)
	v_lshl_or_b32 v16, v7, 12, v0
	v_cmp_gt_i32_e64 s3, 1, v7
	v_cmp_gt_i32_e32 vcc_lo, 31, v9
	v_cmp_ne_u32_e64 s2, 0, v0
	v_lshrrev_b32_e32 v0, 16, v17
	v_cndmask_b32_e64 v13, v16, v13, s3
	v_cndmask_b32_e64 v16, 0, 1, s1
	v_cndmask_b32_e32 v11, 0x7c00, v11, vcc_lo
	v_cmp_eq_u32_e32 vcc_lo, 0x40f, v9
	s_delay_alu instid0(VALU_DEP_3) | instskip(NEXT) | instid1(VALU_DEP_1)
	v_lshl_or_b32 v16, v16, 9, 0x7c00
	v_cndmask_b32_e32 v9, v11, v16, vcc_lo
	v_and_b32_e32 v11, 7, v13
	s_delay_alu instid0(VALU_DEP_2) | instskip(NEXT) | instid1(VALU_DEP_2)
	v_and_or_b32 v0, 0x8000, v0, v9
	v_cmp_lt_i32_e32 vcc_lo, 5, v11
	v_cmp_eq_u32_e64 s1, 3, v11
	v_lshrrev_b32_e32 v11, 2, v13
	v_cndmask_b32_e64 v13, 0, 1, s2
	v_and_b32_e32 v0, 0xffff, v0
	s_delay_alu instid0(VALU_DEP_4) | instskip(NEXT) | instid1(VALU_DEP_3)
	s_or_b32 vcc_lo, s1, vcc_lo
	v_add_co_ci_u32_e32 v11, vcc_lo, 0, v11, vcc_lo
	v_cmp_gt_i32_e32 vcc_lo, 31, v7
	v_lshl_or_b32 v13, v13, 9, 0x7c00
	s_delay_alu instid0(VALU_DEP_3) | instskip(SKIP_1) | instid1(VALU_DEP_2)
	v_cndmask_b32_e32 v11, 0x7c00, v11, vcc_lo
	v_cmp_eq_u32_e32 vcc_lo, 0x40f, v7
	v_cndmask_b32_e32 v7, v11, v13, vcc_lo
	v_add_co_u32 v19, vcc_lo, v14, s13
	v_add_co_ci_u32_e32 v20, vcc_lo, s12, v15, vcc_lo
	s_delay_alu instid0(VALU_DEP_3) | instskip(NEXT) | instid1(VALU_DEP_1)
	v_and_or_b32 v1, 0x8000, v1, v7
	v_lshl_or_b32 v0, v1, 16, v0
	global_store_b32 v[14:15], v0, off
	ds_load_2addr_b32 v[14:15], v144 offset0:8 offset1:108
	s_waitcnt lgkmcnt(0)
	v_lshrrev_b32_e32 v9, 16, v14
	s_waitcnt vmcnt(2)
	v_mul_f16_e32 v0, v34, v14
	s_waitcnt vmcnt(0)
	s_delay_alu instid0(VALU_DEP_1) | instskip(NEXT) | instid1(VALU_DEP_1)
	v_fma_f16 v0, v32, v9, -v0
	v_cvt_f32_f16_e32 v0, v0
	s_delay_alu instid0(VALU_DEP_1) | instskip(NEXT) | instid1(VALU_DEP_1)
	v_cvt_f64_f32_e32 v[0:1], v0
	v_mul_f64 v[24:25], v[0:1], s[10:11]
	s_delay_alu instid0(VALU_DEP_1) | instskip(SKIP_2) | instid1(VALU_DEP_3)
	v_and_or_b32 v0, 0x1ff, v25, v24
	v_lshrrev_b32_e32 v1, 8, v25
	v_bfe_u32 v29, v25, 20, 11
	v_cmp_ne_u32_e32 vcc_lo, 0, v0
	v_cndmask_b32_e64 v0, 0, 1, vcc_lo
	s_delay_alu instid0(VALU_DEP_1) | instskip(NEXT) | instid1(VALU_DEP_4)
	v_and_or_b32 v28, 0xffe, v1, v0
	v_sub_nc_u32_e32 v0, 0x3f1, v29
	s_delay_alu instid0(VALU_DEP_2) | instskip(NEXT) | instid1(VALU_DEP_2)
	v_or_b32_e32 v1, 0x1000, v28
	v_med3_i32 v0, v0, 0, 13
	s_delay_alu instid0(VALU_DEP_1) | instskip(NEXT) | instid1(VALU_DEP_1)
	v_lshrrev_b32_e32 v30, v0, v1
	v_lshlrev_b32_e32 v0, v0, v30
	s_delay_alu instid0(VALU_DEP_1) | instskip(SKIP_4) | instid1(VALU_DEP_1)
	v_cmp_ne_u32_e64 s1, v0, v1
	ds_load_2addr_b32 v[0:1], v110 offset0:80 offset1:180
	s_waitcnt lgkmcnt(0)
	v_lshrrev_b32_e32 v7, 16, v1
	v_mul_f16_e32 v11, v37, v1
	v_fma_f16 v11, v33, v7, -v11
	v_mul_f16_e32 v7, v37, v7
	s_delay_alu instid0(VALU_DEP_2) | instskip(NEXT) | instid1(VALU_DEP_2)
	v_cvt_f32_f16_e32 v11, v11
	v_fmac_f16_e32 v7, v33, v1
	s_delay_alu instid0(VALU_DEP_2) | instskip(NEXT) | instid1(VALU_DEP_2)
	v_cvt_f64_f32_e32 v[16:17], v11
	v_cvt_f32_f16_e32 v1, v7
	s_delay_alu instid0(VALU_DEP_2) | instskip(NEXT) | instid1(VALU_DEP_1)
	v_mul_f64 v[16:17], v[16:17], s[10:11]
	v_and_or_b32 v11, 0x1ff, v17, v16
	v_lshrrev_b32_e32 v13, 8, v17
	v_bfe_u32 v16, v17, 20, 11
	s_delay_alu instid0(VALU_DEP_3) | instskip(SKIP_1) | instid1(VALU_DEP_1)
	v_cmp_ne_u32_e32 vcc_lo, 0, v11
	v_cndmask_b32_e64 v11, 0, 1, vcc_lo
	v_and_or_b32 v11, 0xffe, v13, v11
	s_delay_alu instid0(VALU_DEP_4) | instskip(SKIP_1) | instid1(VALU_DEP_3)
	v_sub_nc_u32_e32 v13, 0x3f1, v16
	v_add_nc_u32_e32 v16, 0xfffffc10, v16
	v_or_b32_e32 v26, 0x1000, v11
	s_delay_alu instid0(VALU_DEP_3) | instskip(NEXT) | instid1(VALU_DEP_1)
	v_med3_i32 v13, v13, 0, 13
	v_lshrrev_b32_e32 v24, v13, v26
	s_delay_alu instid0(VALU_DEP_1) | instskip(NEXT) | instid1(VALU_DEP_1)
	v_lshlrev_b32_e32 v13, v13, v24
	v_cmp_ne_u32_e32 vcc_lo, v13, v26
	v_mul_f16_e32 v13, v35, v23
	s_delay_alu instid0(VALU_DEP_1) | instskip(NEXT) | instid1(VALU_DEP_1)
	v_fmac_f16_e32 v13, v31, v5
	v_cvt_f32_f16_e32 v5, v13
	s_delay_alu instid0(VALU_DEP_1) | instskip(NEXT) | instid1(VALU_DEP_1)
	v_cvt_f64_f32_e32 v[26:27], v5
	v_mul_f64 v[26:27], v[26:27], s[10:11]
	s_delay_alu instid0(VALU_DEP_1) | instskip(SKIP_1) | instid1(VALU_DEP_2)
	v_and_or_b32 v5, 0x1ff, v27, v26
	v_lshrrev_b32_e32 v13, 8, v27
	v_cmp_ne_u32_e64 s2, 0, v5
	s_delay_alu instid0(VALU_DEP_1) | instskip(NEXT) | instid1(VALU_DEP_1)
	v_cndmask_b32_e64 v5, 0, 1, s2
	v_and_or_b32 v5, 0xffe, v13, v5
	v_bfe_u32 v13, v27, 20, 11
	s_delay_alu instid0(VALU_DEP_2) | instskip(NEXT) | instid1(VALU_DEP_2)
	v_or_b32_e32 v26, 0x1000, v5
	v_sub_nc_u32_e32 v23, 0x3f1, v13
	v_add_nc_u32_e32 v13, 0xfffffc10, v13
	s_delay_alu instid0(VALU_DEP_2) | instskip(NEXT) | instid1(VALU_DEP_1)
	v_med3_i32 v23, v23, 0, 13
	v_lshrrev_b32_e32 v31, v23, v26
	s_delay_alu instid0(VALU_DEP_1) | instskip(NEXT) | instid1(VALU_DEP_1)
	v_lshlrev_b32_e32 v23, v23, v31
	v_cmp_ne_u32_e64 s2, v23, v26
	v_lshl_or_b32 v26, v13, 12, v5
	s_delay_alu instid0(VALU_DEP_2) | instskip(SKIP_1) | instid1(VALU_DEP_2)
	v_cndmask_b32_e64 v23, 0, 1, s2
	v_cmp_gt_i32_e64 s2, 1, v13
	v_or_b32_e32 v23, v31, v23
	s_delay_alu instid0(VALU_DEP_1) | instskip(NEXT) | instid1(VALU_DEP_1)
	v_cndmask_b32_e64 v23, v26, v23, s2
	v_and_b32_e32 v26, 7, v23
	s_delay_alu instid0(VALU_DEP_1) | instskip(SKIP_4) | instid1(VALU_DEP_4)
	v_cmp_lt_i32_e64 s2, 5, v26
	v_cmp_eq_u32_e64 s3, 3, v26
	v_cndmask_b32_e64 v26, 0, 1, s0
	v_cmp_ne_u32_e64 s0, 0, v5
	v_add_nc_u32_e32 v5, 0xfffffc10, v21
	s_or_b32 s2, s3, s2
	s_delay_alu instid0(VALU_DEP_3) | instskip(SKIP_1) | instid1(VALU_DEP_3)
	v_or_b32_e32 v22, v22, v26
	v_cmp_ne_u32_e64 s3, 0, v3
	v_lshl_or_b32 v21, v5, 12, v3
	v_cmp_gt_i32_e64 s4, 1, v5
	s_delay_alu instid0(VALU_DEP_1) | instskip(SKIP_3) | instid1(VALU_DEP_4)
	v_cndmask_b32_e64 v21, v21, v22, s4
	v_lshrrev_b32_e32 v22, 2, v23
	v_cndmask_b32_e64 v23, 0, 1, s0
	v_cmp_eq_u32_e64 s0, 0x40f, v13
	v_lshrrev_b32_e32 v3, 2, v21
	s_delay_alu instid0(VALU_DEP_4) | instskip(SKIP_2) | instid1(VALU_DEP_2)
	v_add_co_ci_u32_e64 v22, s2, 0, v22, s2
	v_cmp_gt_i32_e64 s2, 31, v13
	v_lshl_or_b32 v23, v23, 9, 0x7c00
	v_cndmask_b32_e64 v22, 0x7c00, v22, s2
	s_delay_alu instid0(VALU_DEP_1) | instskip(SKIP_3) | instid1(VALU_DEP_3)
	v_cndmask_b32_e64 v13, v22, v23, s0
	v_and_b32_e32 v23, 7, v21
	v_cndmask_b32_e64 v21, 0, 1, s3
	v_lshrrev_b32_e32 v22, 16, v27
	v_cmp_lt_i32_e64 s0, 5, v23
	v_cmp_eq_u32_e64 s2, 3, v23
	s_delay_alu instid0(VALU_DEP_4) | instskip(NEXT) | instid1(VALU_DEP_4)
	v_lshl_or_b32 v21, v21, 9, 0x7c00
	v_and_or_b32 v13, 0x8000, v22, v13
	s_delay_alu instid0(VALU_DEP_3) | instskip(NEXT) | instid1(SALU_CYCLE_1)
	s_or_b32 s0, s2, s0
	v_add_co_ci_u32_e64 v3, s0, 0, v3, s0
	v_cmp_gt_i32_e64 s0, 31, v5
	s_delay_alu instid0(VALU_DEP_1) | instskip(SKIP_2) | instid1(VALU_DEP_2)
	v_cndmask_b32_e64 v3, 0x7c00, v3, s0
	v_cmp_eq_u32_e64 s0, 0x40f, v5
	v_lshrrev_b32_e32 v5, 16, v18
	v_cndmask_b32_e64 v3, v3, v21, s0
	v_add_co_u32 v18, s0, v19, s13
	s_delay_alu instid0(VALU_DEP_2) | instskip(SKIP_1) | instid1(VALU_DEP_1)
	v_and_or_b32 v3, 0x8000, v5, v3
	v_and_b32_e32 v5, 0xffff, v13
	v_lshl_or_b32 v3, v3, 16, v5
	global_store_b32 v[19:20], v3, off
	v_mul_f16_e32 v3, v34, v9
	v_add_co_ci_u32_e64 v19, s0, s12, v20, s0
	s_delay_alu instid0(VALU_DEP_2) | instskip(NEXT) | instid1(VALU_DEP_1)
	v_fmac_f16_e32 v3, v32, v14
	v_cvt_f32_f16_e32 v3, v3
	s_delay_alu instid0(VALU_DEP_1) | instskip(NEXT) | instid1(VALU_DEP_1)
	v_cvt_f64_f32_e32 v[13:14], v3
	v_mul_f64 v[13:14], v[13:14], s[10:11]
	s_delay_alu instid0(VALU_DEP_1) | instskip(SKIP_1) | instid1(VALU_DEP_2)
	v_and_or_b32 v3, 0x1ff, v14, v13
	v_lshrrev_b32_e32 v5, 8, v14
	v_cmp_ne_u32_e64 s0, 0, v3
	s_delay_alu instid0(VALU_DEP_1) | instskip(NEXT) | instid1(VALU_DEP_1)
	v_cndmask_b32_e64 v3, 0, 1, s0
	v_and_or_b32 v3, 0xffe, v5, v3
	v_bfe_u32 v5, v14, 20, 11
	s_delay_alu instid0(VALU_DEP_2) | instskip(NEXT) | instid1(VALU_DEP_2)
	v_or_b32_e32 v13, 0x1000, v3
	v_sub_nc_u32_e32 v9, 0x3f1, v5
	v_add_nc_u32_e32 v5, 0xfffffc10, v5
	v_cmp_ne_u32_e64 s2, 0, v3
	s_delay_alu instid0(VALU_DEP_3) | instskip(NEXT) | instid1(VALU_DEP_1)
	v_med3_i32 v9, v9, 0, 13
	v_lshrrev_b32_e32 v20, v9, v13
	s_delay_alu instid0(VALU_DEP_1) | instskip(NEXT) | instid1(VALU_DEP_1)
	v_lshlrev_b32_e32 v9, v9, v20
	v_cmp_ne_u32_e64 s0, v9, v13
	v_lshl_or_b32 v13, v5, 12, v3
	s_delay_alu instid0(VALU_DEP_2) | instskip(SKIP_1) | instid1(VALU_DEP_2)
	v_cndmask_b32_e64 v9, 0, 1, s0
	v_cmp_gt_i32_e64 s0, 1, v5
	v_or_b32_e32 v9, v20, v9
	v_add_nc_u32_e32 v20, 0xfffffc10, v29
	s_delay_alu instid0(VALU_DEP_2) | instskip(SKIP_1) | instid1(VALU_DEP_3)
	v_cndmask_b32_e64 v9, v13, v9, s0
	v_cndmask_b32_e64 v13, 0, 1, s1
	v_lshl_or_b32 v21, v20, 12, v28
	v_cmp_gt_i32_e64 s0, 1, v20
	s_delay_alu instid0(VALU_DEP_3) | instskip(NEXT) | instid1(VALU_DEP_1)
	v_or_b32_e32 v13, v30, v13
	v_cndmask_b32_e64 v13, v21, v13, s0
	v_and_b32_e32 v21, 7, v9
	s_delay_alu instid0(VALU_DEP_2) | instskip(NEXT) | instid1(VALU_DEP_2)
	v_and_b32_e32 v3, 7, v13
	v_cmp_lt_i32_e64 s0, 5, v21
	v_cmp_eq_u32_e64 s1, 3, v21
	s_delay_alu instid0(VALU_DEP_3) | instskip(SKIP_2) | instid1(VALU_DEP_4)
	v_cmp_lt_i32_e64 s3, 5, v3
	v_cmp_eq_u32_e64 s4, 3, v3
	v_lshrrev_b32_e32 v3, 2, v9
	s_or_b32 s0, s1, s0
	v_cndmask_b32_e64 v9, 0, 1, s2
	s_delay_alu instid0(VALU_DEP_3) | instskip(NEXT) | instid1(VALU_DEP_2)
	s_or_b32 s1, s4, s3
	v_add_co_ci_u32_e64 v3, s0, 0, v3, s0
	v_cmp_gt_i32_e64 s0, 31, v5
	s_delay_alu instid0(VALU_DEP_3) | instskip(NEXT) | instid1(VALU_DEP_2)
	v_lshl_or_b32 v9, v9, 9, 0x7c00
	v_cndmask_b32_e64 v3, 0x7c00, v3, s0
	v_cmp_eq_u32_e64 s0, 0x40f, v5
	v_lshrrev_b32_e32 v5, 16, v14
	s_delay_alu instid0(VALU_DEP_2) | instskip(SKIP_2) | instid1(VALU_DEP_3)
	v_cndmask_b32_e64 v3, v3, v9, s0
	v_lshrrev_b32_e32 v9, 2, v13
	v_cmp_ne_u32_e64 s0, 0, v28
	v_and_or_b32 v3, 0x8000, v5, v3
	s_delay_alu instid0(VALU_DEP_3) | instskip(SKIP_1) | instid1(VALU_DEP_4)
	v_add_co_ci_u32_e64 v9, s1, 0, v9, s1
	v_cmp_gt_i32_e64 s1, 31, v20
	v_cndmask_b32_e64 v13, 0, 1, s0
	v_cmp_eq_u32_e64 s0, 0x40f, v20
	v_and_b32_e32 v3, 0xffff, v3
	s_delay_alu instid0(VALU_DEP_4) | instskip(NEXT) | instid1(VALU_DEP_4)
	v_cndmask_b32_e64 v9, 0x7c00, v9, s1
	v_lshl_or_b32 v13, v13, 9, 0x7c00
	s_delay_alu instid0(VALU_DEP_1) | instskip(SKIP_2) | instid1(VALU_DEP_1)
	v_cndmask_b32_e64 v9, v9, v13, s0
	v_lshrrev_b32_e32 v13, 16, v25
	v_add_co_u32 v28, s0, v18, s13
	v_add_co_ci_u32_e64 v29, s0, s12, v19, s0
	s_delay_alu instid0(VALU_DEP_3)
	v_and_or_b32 v5, 0x8000, v13, v9
	ds_load_2addr_b32 v[13:14], v136 offset0:96 offset1:196
	v_lshl_or_b32 v3, v5, 16, v3
	global_store_b32 v[18:19], v3, off
	s_waitcnt lgkmcnt(0)
	v_lshrrev_b32_e32 v5, 16, v13
	v_mul_f16_e32 v3, v41, v13
	s_delay_alu instid0(VALU_DEP_1) | instskip(NEXT) | instid1(VALU_DEP_1)
	v_fma_f16 v3, v38, v5, -v3
	v_cvt_f32_f16_e32 v3, v3
	s_delay_alu instid0(VALU_DEP_1) | instskip(NEXT) | instid1(VALU_DEP_1)
	v_cvt_f64_f32_e32 v[18:19], v3
	v_mul_f64 v[30:31], v[18:19], s[10:11]
	scratch_load_b32 v18, off, off offset:160 ; 4-byte Folded Reload
	v_and_or_b32 v3, 0x1ff, v31, v30
	v_lshrrev_b32_e32 v9, 8, v31
	v_bfe_u32 v34, v31, 20, 11
	s_delay_alu instid0(VALU_DEP_3) | instskip(NEXT) | instid1(VALU_DEP_1)
	v_cmp_ne_u32_e64 s0, 0, v3
	v_cndmask_b32_e64 v3, 0, 1, s0
	s_delay_alu instid0(VALU_DEP_1) | instskip(NEXT) | instid1(VALU_DEP_4)
	v_and_or_b32 v30, 0xffe, v9, v3
	v_sub_nc_u32_e32 v3, 0x3f1, v34
	s_delay_alu instid0(VALU_DEP_2) | instskip(NEXT) | instid1(VALU_DEP_2)
	v_or_b32_e32 v9, 0x1000, v30
	v_med3_i32 v3, v3, 0, 13
	s_delay_alu instid0(VALU_DEP_1) | instskip(NEXT) | instid1(VALU_DEP_1)
	v_lshrrev_b32_e32 v35, v3, v9
	v_lshlrev_b32_e32 v3, v3, v35
	s_delay_alu instid0(VALU_DEP_1) | instskip(SKIP_3) | instid1(VALU_DEP_1)
	v_cmp_ne_u32_e64 s3, v3, v9
	scratch_load_b32 v9, off, off offset:164 ; 4-byte Folded Reload
	v_lshrrev_b32_e32 v3, 16, v2
	s_waitcnt vmcnt(0)
	v_mul_f16_e32 v20, v9, v3
	v_mul_f16_e32 v9, v9, v2
	s_delay_alu instid0(VALU_DEP_2) | instskip(NEXT) | instid1(VALU_DEP_2)
	v_fmac_f16_e32 v20, v18, v2
	v_fma_f16 v36, v18, v3, -v9
	ds_load_2addr_b32 v[2:3], v119 offset0:40 offset1:140
	s_waitcnt lgkmcnt(0)
	v_lshrrev_b32_e32 v27, 16, v3
	v_mul_f16_e32 v9, v40, v3
	s_delay_alu instid0(VALU_DEP_1)
	v_fma_f16 v9, v39, v27, -v9
	v_mul_f16_e32 v27, v40, v27
	scratch_load_b32 v40, off, off offset:76 ; 4-byte Folded Reload
	v_cvt_f32_f16_e32 v9, v9
	v_fmac_f16_e32 v27, v39, v3
	scratch_load_b32 v39, off, off offset:72 ; 4-byte Folded Reload
	v_cvt_f64_f32_e32 v[18:19], v9
	v_cvt_f32_f16_e32 v3, v27
	s_delay_alu instid0(VALU_DEP_2) | instskip(NEXT) | instid1(VALU_DEP_1)
	v_mul_f64 v[18:19], v[18:19], s[10:11]
	v_and_or_b32 v9, 0x1ff, v19, v18
	v_lshrrev_b32_e32 v18, 8, v19
	v_bfe_u32 v22, v19, 20, 11
	v_lshrrev_b32_e32 v19, 16, v19
	s_delay_alu instid0(VALU_DEP_4) | instskip(NEXT) | instid1(VALU_DEP_1)
	v_cmp_ne_u32_e64 s0, 0, v9
	v_cndmask_b32_e64 v9, 0, 1, s0
	s_delay_alu instid0(VALU_DEP_1) | instskip(SKIP_2) | instid1(VALU_DEP_3)
	v_and_or_b32 v9, 0xffe, v18, v9
	v_sub_nc_u32_e32 v18, 0x3f1, v22
	v_add_nc_u32_e32 v22, 0xfffffc10, v22
	v_or_b32_e32 v21, 0x1000, v9
	s_delay_alu instid0(VALU_DEP_3) | instskip(NEXT) | instid1(VALU_DEP_1)
	v_med3_i32 v18, v18, 0, 13
	v_lshrrev_b32_e32 v23, v18, v21
	s_delay_alu instid0(VALU_DEP_1) | instskip(NEXT) | instid1(VALU_DEP_1)
	v_lshlrev_b32_e32 v18, v18, v23
	v_cmp_ne_u32_e64 s0, v18, v21
	v_cvt_f32_f16_e32 v18, v20
	s_delay_alu instid0(VALU_DEP_1) | instskip(NEXT) | instid1(VALU_DEP_1)
	v_cvt_f64_f32_e32 v[20:21], v18
	v_mul_f64 v[20:21], v[20:21], s[10:11]
	s_delay_alu instid0(VALU_DEP_1) | instskip(SKIP_3) | instid1(VALU_DEP_4)
	v_and_or_b32 v18, 0x1ff, v21, v20
	v_lshrrev_b32_e32 v20, 8, v21
	v_bfe_u32 v25, v21, 20, 11
	v_lshrrev_b32_e32 v21, 16, v21
	v_cmp_ne_u32_e64 s1, 0, v18
	s_delay_alu instid0(VALU_DEP_1) | instskip(NEXT) | instid1(VALU_DEP_1)
	v_cndmask_b32_e64 v18, 0, 1, s1
	v_and_or_b32 v20, 0xffe, v20, v18
	v_sub_nc_u32_e32 v18, 0x3f1, v25
	s_delay_alu instid0(VALU_DEP_2) | instskip(NEXT) | instid1(VALU_DEP_2)
	v_or_b32_e32 v32, 0x1000, v20
	v_med3_i32 v18, v18, 0, 13
	s_delay_alu instid0(VALU_DEP_1) | instskip(NEXT) | instid1(VALU_DEP_1)
	v_lshrrev_b32_e32 v26, v18, v32
	v_lshlrev_b32_e32 v18, v18, v26
	s_delay_alu instid0(VALU_DEP_1) | instskip(SKIP_1) | instid1(VALU_DEP_1)
	v_cmp_ne_u32_e64 s1, v18, v32
	v_cvt_f64_f32_e32 v[32:33], v1
	v_mul_f64 v[32:33], v[32:33], s[10:11]
	s_delay_alu instid0(VALU_DEP_1) | instskip(SKIP_1) | instid1(VALU_DEP_2)
	v_and_or_b32 v1, 0x1ff, v33, v32
	v_lshrrev_b32_e32 v7, 8, v33
	v_cmp_ne_u32_e64 s2, 0, v1
	s_delay_alu instid0(VALU_DEP_1) | instskip(NEXT) | instid1(VALU_DEP_1)
	v_cndmask_b32_e64 v1, 0, 1, s2
	v_and_or_b32 v1, 0xffe, v7, v1
	v_bfe_u32 v7, v33, 20, 11
	s_delay_alu instid0(VALU_DEP_2) | instskip(NEXT) | instid1(VALU_DEP_2)
	v_or_b32_e32 v32, 0x1000, v1
	v_sub_nc_u32_e32 v18, 0x3f1, v7
	v_add_nc_u32_e32 v7, 0xfffffc10, v7
	v_cmp_ne_u32_e64 s5, 0, v1
	s_delay_alu instid0(VALU_DEP_3) | instskip(NEXT) | instid1(VALU_DEP_1)
	v_med3_i32 v18, v18, 0, 13
	v_lshrrev_b32_e32 v37, v18, v32
	s_delay_alu instid0(VALU_DEP_1) | instskip(NEXT) | instid1(VALU_DEP_1)
	v_lshlrev_b32_e32 v18, v18, v37
	v_cmp_ne_u32_e64 s2, v18, v32
	v_lshl_or_b32 v32, v7, 12, v1
	v_cndmask_b32_e64 v1, 0, 1, vcc_lo
	v_cmp_gt_i32_e32 vcc_lo, 1, v16
	s_delay_alu instid0(VALU_DEP_4) | instskip(SKIP_1) | instid1(VALU_DEP_4)
	v_cndmask_b32_e64 v18, 0, 1, s2
	v_cmp_gt_i32_e64 s2, 1, v7
	v_or_b32_e32 v1, v24, v1
	v_lshl_or_b32 v24, v16, 12, v11
	s_delay_alu instid0(VALU_DEP_4) | instskip(SKIP_4) | instid1(VALU_DEP_2)
	v_or_b32_e32 v18, v37, v18
	scratch_load_b32 v37, off, off offset:136 ; 4-byte Folded Reload
	v_cndmask_b32_e32 v1, v24, v1, vcc_lo
	v_cndmask_b32_e64 v24, 0, 1, s5
	v_cndmask_b32_e64 v18, v32, v18, s2
	v_lshl_or_b32 v24, v24, 9, 0x7c00
	s_delay_alu instid0(VALU_DEP_2) | instskip(SKIP_1) | instid1(VALU_DEP_2)
	v_and_b32_e32 v32, 7, v18
	v_lshrrev_b32_e32 v18, 2, v18
	v_cmp_lt_i32_e64 s2, 5, v32
	v_cmp_eq_u32_e64 s4, 3, v32
	s_delay_alu instid0(VALU_DEP_1) | instskip(SKIP_3) | instid1(VALU_DEP_3)
	s_or_b32 vcc_lo, s4, s2
	v_cmp_ne_u32_e64 s4, 0, v11
	v_add_co_ci_u32_e32 v18, vcc_lo, 0, v18, vcc_lo
	v_cmp_gt_i32_e32 vcc_lo, 31, v7
	v_cndmask_b32_e64 v11, 0, 1, s4
	s_delay_alu instid0(VALU_DEP_3) | instskip(SKIP_1) | instid1(VALU_DEP_3)
	v_cndmask_b32_e32 v18, 0x7c00, v18, vcc_lo
	v_cmp_eq_u32_e32 vcc_lo, 0x40f, v7
	v_lshl_or_b32 v11, v11, 9, 0x7c00
	s_delay_alu instid0(VALU_DEP_3) | instskip(SKIP_2) | instid1(VALU_DEP_3)
	v_dual_cndmask_b32 v7, v18, v24 :: v_dual_and_b32 v24, 7, v1
	v_lshrrev_b32_e32 v1, 2, v1
	v_lshrrev_b32_e32 v18, 16, v33
	v_cmp_lt_i32_e32 vcc_lo, 5, v24
	v_cmp_eq_u32_e64 s2, 3, v24
	s_delay_alu instid0(VALU_DEP_3) | instskip(NEXT) | instid1(VALU_DEP_2)
	v_and_or_b32 v7, 0x8000, v18, v7
	s_or_b32 vcc_lo, s2, vcc_lo
	s_delay_alu instid0(VALU_DEP_1) | instskip(SKIP_2) | instid1(VALU_DEP_2)
	v_and_b32_e32 v7, 0xffff, v7
	v_add_co_ci_u32_e32 v1, vcc_lo, 0, v1, vcc_lo
	v_cmp_gt_i32_e32 vcc_lo, 31, v16
	v_cndmask_b32_e32 v1, 0x7c00, v1, vcc_lo
	v_cmp_eq_u32_e32 vcc_lo, 0x40f, v16
	s_delay_alu instid0(VALU_DEP_2) | instskip(SKIP_1) | instid1(VALU_DEP_1)
	v_cndmask_b32_e32 v1, v1, v11, vcc_lo
	v_lshrrev_b32_e32 v11, 16, v17
	v_and_or_b32 v1, 0x8000, v11, v1
	s_delay_alu instid0(VALU_DEP_1) | instskip(SKIP_4) | instid1(VALU_DEP_3)
	v_lshl_or_b32 v1, v1, 16, v7
	global_store_b32 v[28:29], v1, off
	v_cvt_f32_f16_e32 v1, v36
	v_add_co_u32 v28, vcc_lo, v28, s13
	v_add_co_ci_u32_e32 v29, vcc_lo, s12, v29, vcc_lo
	v_cvt_f64_f32_e32 v[16:17], v1
	s_delay_alu instid0(VALU_DEP_1) | instskip(NEXT) | instid1(VALU_DEP_1)
	v_mul_f64 v[17:18], v[16:17], s[10:11]
	v_and_or_b32 v1, 0x1ff, v18, v17
	v_lshrrev_b32_e32 v7, 8, v18
	v_bfe_u32 v33, v18, 20, 11
	v_lshrrev_b32_e32 v18, 16, v18
	s_delay_alu instid0(VALU_DEP_4) | instskip(SKIP_1) | instid1(VALU_DEP_1)
	v_cmp_ne_u32_e32 vcc_lo, 0, v1
	v_cndmask_b32_e64 v1, 0, 1, vcc_lo
	v_and_or_b32 v32, 0xffe, v7, v1
	v_sub_nc_u32_e32 v1, 0x3f1, v33
	s_delay_alu instid0(VALU_DEP_2) | instskip(NEXT) | instid1(VALU_DEP_2)
	v_or_b32_e32 v7, 0x1000, v32
	v_med3_i32 v1, v1, 0, 13
	s_delay_alu instid0(VALU_DEP_1) | instskip(NEXT) | instid1(VALU_DEP_1)
	v_lshrrev_b32_e32 v36, v1, v7
	v_lshlrev_b32_e32 v1, v1, v36
	s_delay_alu instid0(VALU_DEP_1) | instskip(SKIP_1) | instid1(VALU_DEP_1)
	v_cmp_ne_u32_e64 s2, v1, v7
	v_mul_f16_e32 v1, v41, v5
	v_fmac_f16_e32 v1, v38, v13
	scratch_load_b32 v38, off, off offset:140 ; 4-byte Folded Reload
	v_cvt_f32_f16_e32 v1, v1
	s_delay_alu instid0(VALU_DEP_1) | instskip(NEXT) | instid1(VALU_DEP_1)
	v_cvt_f64_f32_e32 v[16:17], v1
	v_mul_f64 v[16:17], v[16:17], s[10:11]
	s_delay_alu instid0(VALU_DEP_1) | instskip(SKIP_1) | instid1(VALU_DEP_2)
	v_and_or_b32 v1, 0x1ff, v17, v16
	v_lshrrev_b32_e32 v5, 8, v17
	v_cmp_ne_u32_e32 vcc_lo, 0, v1
	v_cndmask_b32_e64 v1, 0, 1, vcc_lo
	s_delay_alu instid0(VALU_DEP_1) | instskip(SKIP_1) | instid1(VALU_DEP_2)
	v_and_or_b32 v1, 0xffe, v5, v1
	v_bfe_u32 v5, v17, 20, 11
	v_or_b32_e32 v11, 0x1000, v1
	s_delay_alu instid0(VALU_DEP_2) | instskip(SKIP_2) | instid1(VALU_DEP_3)
	v_sub_nc_u32_e32 v7, 0x3f1, v5
	v_add_nc_u32_e32 v5, 0xfffffc10, v5
	v_cmp_ne_u32_e64 s5, 0, v1
	v_med3_i32 v7, v7, 0, 13
	s_delay_alu instid0(VALU_DEP_1) | instskip(NEXT) | instid1(VALU_DEP_1)
	v_lshrrev_b32_e32 v13, v7, v11
	v_lshlrev_b32_e32 v7, v7, v13
	s_delay_alu instid0(VALU_DEP_1) | instskip(SKIP_4) | instid1(VALU_DEP_3)
	v_cmp_ne_u32_e32 vcc_lo, v7, v11
	v_lshl_or_b32 v11, v5, 12, v1
	v_cndmask_b32_e64 v1, 0, 1, s3
	v_cndmask_b32_e64 v7, 0, 1, vcc_lo
	v_cmp_gt_i32_e32 vcc_lo, 1, v5
	v_or_b32_e32 v1, v35, v1
	s_delay_alu instid0(VALU_DEP_3) | instskip(NEXT) | instid1(VALU_DEP_1)
	v_or_b32_e32 v7, v13, v7
	v_cndmask_b32_e32 v7, v11, v7, vcc_lo
	s_delay_alu instid0(VALU_DEP_1) | instskip(SKIP_1) | instid1(VALU_DEP_2)
	v_and_b32_e32 v11, 7, v7
	v_lshrrev_b32_e32 v7, 2, v7
	v_cmp_lt_i32_e32 vcc_lo, 5, v11
	v_cmp_eq_u32_e64 s4, 3, v11
	v_add_nc_u32_e32 v11, 0xfffffc10, v34
	s_delay_alu instid0(VALU_DEP_2) | instskip(NEXT) | instid1(VALU_DEP_1)
	s_or_b32 vcc_lo, s4, vcc_lo
	v_lshl_or_b32 v13, v11, 12, v30
	v_cmp_gt_i32_e64 s3, 1, v11
	v_add_co_ci_u32_e32 v7, vcc_lo, 0, v7, vcc_lo
	v_cmp_gt_i32_e32 vcc_lo, 31, v5
	v_cmp_ne_u32_e64 s4, 0, v30
	s_delay_alu instid0(VALU_DEP_4) | instskip(SKIP_3) | instid1(VALU_DEP_3)
	v_cndmask_b32_e64 v1, v13, v1, s3
	v_cndmask_b32_e64 v13, 0, 1, s5
	v_cndmask_b32_e32 v7, 0x7c00, v7, vcc_lo
	v_cmp_eq_u32_e32 vcc_lo, 0x40f, v5
	v_lshl_or_b32 v13, v13, 9, 0x7c00
	s_delay_alu instid0(VALU_DEP_1) | instskip(SKIP_3) | instid1(VALU_DEP_3)
	v_cndmask_b32_e32 v5, v7, v13, vcc_lo
	v_and_b32_e32 v13, 7, v1
	v_lshrrev_b32_e32 v1, 2, v1
	v_lshrrev_b32_e32 v7, 16, v17
	v_cmp_lt_i32_e32 vcc_lo, 5, v13
	v_cmp_eq_u32_e64 s3, 3, v13
	v_cndmask_b32_e64 v13, 0, 1, s4
	s_delay_alu instid0(VALU_DEP_4)
	v_and_or_b32 v5, 0x8000, v7, v5
	scratch_load_b32 v7, off, off offset:148 ; 4-byte Folded Reload
	s_or_b32 vcc_lo, s3, vcc_lo
	v_lshl_or_b32 v13, v13, 9, 0x7c00
	v_add_co_ci_u32_e32 v1, vcc_lo, 0, v1, vcc_lo
	v_cmp_gt_i32_e32 vcc_lo, 31, v11
	v_and_b32_e32 v5, 0xffff, v5
	s_delay_alu instid0(VALU_DEP_3) | instskip(SKIP_2) | instid1(VALU_DEP_3)
	v_cndmask_b32_e32 v1, 0x7c00, v1, vcc_lo
	v_cmp_eq_u32_e32 vcc_lo, 0x40f, v11
	v_lshrrev_b32_e32 v11, 16, v31
	v_cndmask_b32_e32 v1, v1, v13, vcc_lo
	s_delay_alu instid0(VALU_DEP_1)
	v_and_or_b32 v1, 0x8000, v11, v1
	scratch_load_b32 v11, off, off offset:144 ; 4-byte Folded Reload
	v_lshl_or_b32 v1, v1, 16, v5
	global_store_b32 v[28:29], v1, off
	v_lshrrev_b32_e32 v1, 16, v12
	v_add_co_u32 v28, vcc_lo, v28, s13
	v_add_co_ci_u32_e32 v29, vcc_lo, s12, v29, vcc_lo
	s_waitcnt vmcnt(1)
	s_delay_alu instid0(VALU_DEP_3) | instskip(SKIP_2) | instid1(VALU_DEP_2)
	v_mul_f16_e32 v5, v7, v1
	v_mul_f16_e32 v7, v7, v12
	s_waitcnt vmcnt(0)
	v_fmac_f16_e32 v5, v11, v12
	s_delay_alu instid0(VALU_DEP_2)
	v_fma_f16 v24, v11, v1, -v7
	ds_load_2addr_b32 v[11:12], v127 offset0:144 offset1:244
	v_cvt_f32_f16_e32 v5, v5
	s_waitcnt lgkmcnt(0)
	v_lshrrev_b32_e32 v13, 16, v11
	v_mul_f16_e32 v1, v38, v11
	s_delay_alu instid0(VALU_DEP_1) | instskip(NEXT) | instid1(VALU_DEP_1)
	v_fma_f16 v1, v37, v13, -v1
	v_cvt_f32_f16_e32 v1, v1
	s_delay_alu instid0(VALU_DEP_1) | instskip(NEXT) | instid1(VALU_DEP_1)
	v_cvt_f64_f32_e32 v[16:17], v1
	v_mul_f64 v[16:17], v[16:17], s[10:11]
	s_delay_alu instid0(VALU_DEP_1) | instskip(SKIP_1) | instid1(VALU_DEP_2)
	v_and_or_b32 v1, 0x1ff, v17, v16
	v_lshrrev_b32_e32 v7, 8, v17
	v_cmp_ne_u32_e32 vcc_lo, 0, v1
	v_cndmask_b32_e64 v1, 0, 1, vcc_lo
	s_delay_alu instid0(VALU_DEP_1) | instskip(SKIP_1) | instid1(VALU_DEP_2)
	v_and_or_b32 v1, 0xffe, v7, v1
	v_bfe_u32 v7, v17, 20, 11
	v_or_b32_e32 v31, 0x1000, v1
	s_delay_alu instid0(VALU_DEP_2) | instskip(SKIP_1) | instid1(VALU_DEP_2)
	v_sub_nc_u32_e32 v16, 0x3f1, v7
	v_add_nc_u32_e32 v7, 0xfffffc10, v7
	v_med3_i32 v30, v16, 0, 13
	s_delay_alu instid0(VALU_DEP_1) | instskip(NEXT) | instid1(VALU_DEP_1)
	v_lshrrev_b32_e32 v16, v30, v31
	v_lshlrev_b32_e32 v30, v30, v16
	s_delay_alu instid0(VALU_DEP_1) | instskip(SKIP_1) | instid1(VALU_DEP_1)
	v_cmp_ne_u32_e32 vcc_lo, v30, v31
	v_cvt_f64_f32_e32 v[30:31], v3
	v_mul_f64 v[30:31], v[30:31], s[10:11]
	s_delay_alu instid0(VALU_DEP_1) | instskip(SKIP_1) | instid1(VALU_DEP_2)
	v_and_or_b32 v3, 0x1ff, v31, v30
	v_lshrrev_b32_e32 v27, 8, v31
	v_cmp_ne_u32_e64 s3, 0, v3
	s_delay_alu instid0(VALU_DEP_1) | instskip(NEXT) | instid1(VALU_DEP_1)
	v_cndmask_b32_e64 v3, 0, 1, s3
	v_and_or_b32 v3, 0xffe, v27, v3
	v_bfe_u32 v27, v31, 20, 11
	s_delay_alu instid0(VALU_DEP_2) | instskip(NEXT) | instid1(VALU_DEP_2)
	v_or_b32_e32 v34, 0x1000, v3
	v_sub_nc_u32_e32 v30, 0x3f1, v27
	v_add_nc_u32_e32 v27, 0xfffffc10, v27
	v_cmp_ne_u32_e64 s5, 0, v3
	s_delay_alu instid0(VALU_DEP_3) | instskip(NEXT) | instid1(VALU_DEP_1)
	v_med3_i32 v30, v30, 0, 13
	v_lshrrev_b32_e32 v35, v30, v34
	s_delay_alu instid0(VALU_DEP_1) | instskip(NEXT) | instid1(VALU_DEP_1)
	v_lshlrev_b32_e32 v30, v30, v35
	v_cmp_ne_u32_e64 s3, v30, v34
	v_lshl_or_b32 v34, v27, 12, v3
	v_cndmask_b32_e64 v3, 0, 1, s0
	v_cmp_gt_i32_e64 s0, 1, v22
	s_delay_alu instid0(VALU_DEP_4) | instskip(SKIP_1) | instid1(VALU_DEP_4)
	v_cndmask_b32_e64 v30, 0, 1, s3
	v_cmp_gt_i32_e64 s3, 1, v27
	v_or_b32_e32 v3, v23, v3
	v_lshl_or_b32 v23, v22, 12, v9
	s_delay_alu instid0(VALU_DEP_4) | instskip(SKIP_3) | instid1(VALU_DEP_1)
	v_or_b32_e32 v30, v35, v30
	scratch_load_b32 v35, off, off offset:108 ; 4-byte Folded Reload
	v_cndmask_b32_e64 v3, v23, v3, s0
	v_cndmask_b32_e64 v30, v34, v30, s3
	v_and_b32_e32 v34, 7, v30
	v_lshrrev_b32_e32 v23, 2, v30
	v_cndmask_b32_e64 v30, 0, 1, s5
	s_delay_alu instid0(VALU_DEP_3) | instskip(SKIP_1) | instid1(VALU_DEP_3)
	v_cmp_lt_i32_e64 s3, 5, v34
	v_cmp_eq_u32_e64 s4, 3, v34
	v_lshl_or_b32 v30, v30, 9, 0x7c00
	scratch_load_b32 v34, off, off offset:104 ; 4-byte Folded Reload
	s_or_b32 s0, s4, s3
	v_cmp_ne_u32_e64 s4, 0, v9
	v_add_co_ci_u32_e64 v23, s0, 0, v23, s0
	v_cmp_gt_i32_e64 s0, 31, v27
	v_cndmask_b32_e64 v9, 0, 1, s1
	s_delay_alu instid0(VALU_DEP_2)
	v_cndmask_b32_e64 v23, 0x7c00, v23, s0
	v_cmp_eq_u32_e64 s0, 0x40f, v27
	v_and_b32_e32 v27, 7, v3
	v_lshrrev_b32_e32 v3, 2, v3
	v_or_b32_e32 v9, v26, v9
	v_cndmask_b32_e64 v26, 0, 1, s4
	v_cndmask_b32_e64 v23, v23, v30, s0
	v_cmp_lt_i32_e64 s0, 5, v27
	v_cmp_eq_u32_e64 s3, 3, v27
	v_lshrrev_b32_e32 v27, 16, v31
	v_lshl_or_b32 v26, v26, 9, 0x7c00
	s_delay_alu instid0(VALU_DEP_3) | instskip(NEXT) | instid1(VALU_DEP_2)
	s_or_b32 s0, s3, s0
	v_and_or_b32 v23, 0x8000, v27, v23
	v_add_co_ci_u32_e64 v3, s0, 0, v3, s0
	v_cmp_gt_i32_e64 s0, 31, v22
	v_cmp_ne_u32_e64 s3, 0, v20
	s_delay_alu instid0(VALU_DEP_2) | instskip(SKIP_2) | instid1(VALU_DEP_2)
	v_cndmask_b32_e64 v3, 0x7c00, v3, s0
	v_cmp_eq_u32_e64 s0, 0x40f, v22
	v_add_nc_u32_e32 v22, 0xfffffc10, v25
	v_cndmask_b32_e64 v3, v3, v26, s0
	s_delay_alu instid0(VALU_DEP_2)
	v_lshl_or_b32 v25, v22, 12, v20
	v_cmp_gt_i32_e64 s0, 1, v22
	v_add_nc_u32_e32 v20, 0xfffffc10, v33
	scratch_load_b32 v33, off, off offset:120 ; 4-byte Folded Reload
	v_and_or_b32 v3, 0x8000, v19, v3
	v_cndmask_b32_e64 v9, v25, v9, s0
	s_delay_alu instid0(VALU_DEP_1) | instskip(SKIP_1) | instid1(VALU_DEP_2)
	v_and_b32_e32 v19, 7, v9
	v_lshrrev_b32_e32 v9, 2, v9
	v_cmp_lt_i32_e64 s0, 5, v19
	v_cmp_eq_u32_e64 s1, 3, v19
	v_and_b32_e32 v19, 0xffff, v23
	v_lshl_or_b32 v23, v20, 12, v32
	s_delay_alu instid0(VALU_DEP_3) | instskip(NEXT) | instid1(VALU_DEP_2)
	s_or_b32 s0, s1, s0
	v_lshl_or_b32 v3, v3, 16, v19
	v_cndmask_b32_e64 v19, 0, 1, s2
	v_cmp_gt_i32_e64 s2, 1, v20
	v_add_co_ci_u32_e64 v9, s0, 0, v9, s0
	v_cmp_gt_i32_e64 s0, 31, v22
	s_delay_alu instid0(VALU_DEP_4)
	v_or_b32_e32 v19, v36, v19
	global_store_b32 v[28:29], v3, off
	scratch_load_b32 v36, off, off offset:124 ; 4-byte Folded Reload
	v_cndmask_b32_e64 v9, 0x7c00, v9, s0
	v_cndmask_b32_e64 v19, v23, v19, s2
	;; [unrolled: 1-line block ×3, first 2 shown]
	v_cmp_eq_u32_e64 s0, 0x40f, v22
	v_cmp_ne_u32_e64 s2, 0, v32
	v_cmp_gt_i32_e64 s3, 1, v7
	v_and_b32_e32 v22, 7, v19
	v_lshl_or_b32 v23, v23, 9, 0x7c00
	v_lshrrev_b32_e32 v19, 2, v19
	s_delay_alu instid0(VALU_DEP_3) | instskip(NEXT) | instid1(VALU_DEP_3)
	v_cmp_eq_u32_e64 s1, 3, v22
	v_cndmask_b32_e64 v9, v9, v23, s0
	v_cmp_lt_i32_e64 s0, 5, v22
	v_cndmask_b32_e64 v22, 0, 1, s2
	s_delay_alu instid0(VALU_DEP_3) | instskip(NEXT) | instid1(VALU_DEP_3)
	v_and_or_b32 v9, 0x8000, v21, v9
	s_or_b32 s0, s1, s0
	s_delay_alu instid0(VALU_DEP_2) | instskip(SKIP_3) | instid1(VALU_DEP_2)
	v_lshl_or_b32 v22, v22, 9, 0x7c00
	v_add_co_ci_u32_e64 v19, s0, 0, v19, s0
	v_cmp_gt_i32_e64 s0, 31, v20
	v_and_b32_e32 v9, 0xffff, v9
	v_cndmask_b32_e64 v19, 0x7c00, v19, s0
	v_cmp_eq_u32_e64 s0, 0x40f, v20
	s_delay_alu instid0(VALU_DEP_1)
	v_cndmask_b32_e64 v19, v19, v22, s0
	s_mul_i32 s0, s9, 0xffffd760
	scratch_load_b32 v22, off, off offset:128 ; 4-byte Folded Reload
	s_sub_i32 s9, s0, s8
	v_and_or_b32 v3, 0x8000, v18, v19
	v_mad_u64_u32 v[18:19], null, 0xffffd760, s8, v[28:29]
	s_delay_alu instid0(VALU_DEP_2) | instskip(NEXT) | instid1(VALU_DEP_2)
	v_lshl_or_b32 v3, v3, 16, v9
	v_add_nc_u32_e32 v19, s9, v19
	global_store_b32 v[18:19], v3, off
	v_cvt_f32_f16_e32 v3, v24
	v_add_co_u32 v18, s0, v18, s13
	s_delay_alu instid0(VALU_DEP_1) | instskip(NEXT) | instid1(VALU_DEP_3)
	v_add_co_ci_u32_e64 v19, s0, s12, v19, s0
	v_cvt_f64_f32_e32 v[20:21], v3
	s_delay_alu instid0(VALU_DEP_1) | instskip(NEXT) | instid1(VALU_DEP_1)
	v_mul_f64 v[20:21], v[20:21], s[10:11]
	v_and_or_b32 v3, 0x1ff, v21, v20
	scratch_load_b32 v20, off, off offset:132 ; 4-byte Folded Reload
	v_lshrrev_b32_e32 v9, 8, v21
	v_bfe_u32 v25, v21, 20, 11
	v_lshrrev_b32_e32 v21, 16, v21
	v_cmp_ne_u32_e64 s0, 0, v3
	s_delay_alu instid0(VALU_DEP_1) | instskip(NEXT) | instid1(VALU_DEP_1)
	v_cndmask_b32_e64 v3, 0, 1, s0
	v_and_or_b32 v24, 0xffe, v9, v3
	v_sub_nc_u32_e32 v3, 0x3f1, v25
	s_delay_alu instid0(VALU_DEP_2) | instskip(NEXT) | instid1(VALU_DEP_2)
	v_or_b32_e32 v9, 0x1000, v24
	v_med3_i32 v3, v3, 0, 13
	s_delay_alu instid0(VALU_DEP_1) | instskip(NEXT) | instid1(VALU_DEP_1)
	v_lshrrev_b32_e32 v26, v3, v9
	v_lshlrev_b32_e32 v3, v3, v26
	s_delay_alu instid0(VALU_DEP_1) | instskip(SKIP_2) | instid1(VALU_DEP_1)
	v_cmp_ne_u32_e64 s1, v3, v9
	v_lshrrev_b32_e32 v9, 16, v10
	s_waitcnt vmcnt(0)
	v_mul_f16_e32 v3, v20, v9
	v_mul_f16_e32 v20, v20, v10
	s_delay_alu instid0(VALU_DEP_2) | instskip(NEXT) | instid1(VALU_DEP_2)
	v_fmac_f16_e32 v3, v22, v10
	v_fma_f16 v22, v22, v9, -v20
	v_mul_f16_e32 v9, v38, v13
	scratch_load_b32 v38, off, off offset:92 ; 4-byte Folded Reload
	v_cvt_f32_f16_e32 v3, v3
	v_fmac_f16_e32 v9, v37, v11
	scratch_load_b32 v37, off, off offset:88 ; 4-byte Folded Reload
	v_cvt_f32_f16_e32 v9, v9
	s_delay_alu instid0(VALU_DEP_1) | instskip(NEXT) | instid1(VALU_DEP_1)
	v_cvt_f64_f32_e32 v[9:10], v9
	v_mul_f64 v[9:10], v[9:10], s[10:11]
	s_delay_alu instid0(VALU_DEP_1) | instskip(SKIP_1) | instid1(VALU_DEP_2)
	v_and_or_b32 v9, 0x1ff, v10, v9
	v_lshrrev_b32_e32 v11, 8, v10
	v_cmp_ne_u32_e64 s0, 0, v9
	s_delay_alu instid0(VALU_DEP_1) | instskip(NEXT) | instid1(VALU_DEP_1)
	v_cndmask_b32_e64 v9, 0, 1, s0
	v_and_or_b32 v9, 0xffe, v11, v9
	v_bfe_u32 v11, v10, 20, 11
	v_lshrrev_b32_e32 v10, 16, v10
	s_delay_alu instid0(VALU_DEP_3) | instskip(NEXT) | instid1(VALU_DEP_3)
	v_or_b32_e32 v20, 0x1000, v9
	v_sub_nc_u32_e32 v13, 0x3f1, v11
	v_add_nc_u32_e32 v11, 0xfffffc10, v11
	s_delay_alu instid0(VALU_DEP_2) | instskip(NEXT) | instid1(VALU_DEP_1)
	v_med3_i32 v13, v13, 0, 13
	v_lshrrev_b32_e32 v23, v13, v20
	s_delay_alu instid0(VALU_DEP_1) | instskip(NEXT) | instid1(VALU_DEP_1)
	v_lshlrev_b32_e32 v13, v13, v23
	v_cmp_ne_u32_e64 s0, v13, v20
	v_lshl_or_b32 v20, v11, 12, v9
	s_delay_alu instid0(VALU_DEP_2) | instskip(SKIP_1) | instid1(VALU_DEP_2)
	v_cndmask_b32_e64 v13, 0, 1, s0
	v_cmp_gt_i32_e64 s0, 1, v11
	v_or_b32_e32 v13, v23, v13
	scratch_load_b32 v23, off, off offset:112 ; 4-byte Folded Reload
	v_cndmask_b32_e64 v13, v20, v13, s0
	s_delay_alu instid0(VALU_DEP_1) | instskip(SKIP_1) | instid1(VALU_DEP_2)
	v_and_b32_e32 v20, 7, v13
	v_lshrrev_b32_e32 v13, 2, v13
	v_cmp_lt_i32_e64 s0, 5, v20
	v_cmp_eq_u32_e64 s2, 3, v20
	v_cndmask_b32_e64 v20, 0, 1, vcc_lo
	v_cmp_ne_u32_e32 vcc_lo, 0, v9
	v_lshl_or_b32 v9, v7, 12, v1
	s_delay_alu instid0(VALU_DEP_4) | instskip(NEXT) | instid1(VALU_DEP_3)
	s_or_b32 s0, s2, s0
	v_or_b32_e32 v16, v16, v20
	v_add_co_ci_u32_e64 v13, s0, 0, v13, s0
	v_cmp_gt_i32_e64 s0, 31, v11
	v_cmp_ne_u32_e64 s2, 0, v1
	s_delay_alu instid0(VALU_DEP_4) | instskip(SKIP_3) | instid1(VALU_DEP_4)
	v_cndmask_b32_e64 v9, v9, v16, s3
	v_cndmask_b32_e64 v16, 0, 1, vcc_lo
	v_cmp_eq_u32_e32 vcc_lo, 0x40f, v11
	v_cndmask_b32_e64 v13, 0x7c00, v13, s0
	v_lshrrev_b32_e32 v1, 2, v9
	s_delay_alu instid0(VALU_DEP_4) | instskip(NEXT) | instid1(VALU_DEP_1)
	v_lshl_or_b32 v16, v16, 9, 0x7c00
	v_cndmask_b32_e32 v11, v13, v16, vcc_lo
	v_and_b32_e32 v13, 7, v9
	v_cndmask_b32_e64 v9, 0, 1, s2
	s_delay_alu instid0(VALU_DEP_2) | instskip(SKIP_1) | instid1(VALU_DEP_3)
	v_cmp_lt_i32_e32 vcc_lo, 5, v13
	v_cmp_eq_u32_e64 s0, 3, v13
	v_lshl_or_b32 v9, v9, 9, 0x7c00
	s_delay_alu instid0(VALU_DEP_2) | instskip(SKIP_2) | instid1(VALU_DEP_2)
	s_or_b32 vcc_lo, s0, vcc_lo
	v_add_co_ci_u32_e32 v1, vcc_lo, 0, v1, vcc_lo
	v_cmp_gt_i32_e32 vcc_lo, 31, v7
	v_cndmask_b32_e32 v1, 0x7c00, v1, vcc_lo
	v_cmp_eq_u32_e32 vcc_lo, 0x40f, v7
	v_lshrrev_b32_e32 v7, 16, v17
	ds_load_2addr_b32 v[16:17], v186 offset0:104 offset1:204
	v_cndmask_b32_e32 v1, v1, v9, vcc_lo
	v_and_or_b32 v9, 0x8000, v10, v11
	v_add_co_u32 v10, vcc_lo, v18, s13
	v_add_co_ci_u32_e32 v11, vcc_lo, s12, v19, vcc_lo
	s_delay_alu instid0(VALU_DEP_4) | instskip(NEXT) | instid1(VALU_DEP_4)
	v_and_or_b32 v1, 0x8000, v7, v1
	v_and_b32_e32 v7, 0xffff, v9
	s_delay_alu instid0(VALU_DEP_1) | instskip(SKIP_4) | instid1(VALU_DEP_1)
	v_lshl_or_b32 v1, v1, 16, v7
	global_store_b32 v[18:19], v1, off
	s_waitcnt lgkmcnt(0)
	v_lshrrev_b32_e32 v27, 16, v16
	v_mul_f16_e32 v1, v36, v16
	v_fma_f16 v1, v33, v27, -v1
	s_delay_alu instid0(VALU_DEP_1) | instskip(NEXT) | instid1(VALU_DEP_1)
	v_cvt_f32_f16_e32 v1, v1
	v_cvt_f64_f32_e32 v[18:19], v1
	s_delay_alu instid0(VALU_DEP_1) | instskip(NEXT) | instid1(VALU_DEP_1)
	v_mul_f64 v[19:20], v[18:19], s[10:11]
	v_and_or_b32 v1, 0x1ff, v20, v19
	v_lshrrev_b32_e32 v7, 8, v20
	v_bfe_u32 v29, v20, 20, 11
	s_delay_alu instid0(VALU_DEP_3) | instskip(SKIP_1) | instid1(VALU_DEP_1)
	v_cmp_ne_u32_e32 vcc_lo, 0, v1
	v_cndmask_b32_e64 v1, 0, 1, vcc_lo
	v_and_or_b32 v28, 0xffe, v7, v1
	s_delay_alu instid0(VALU_DEP_4) | instskip(NEXT) | instid1(VALU_DEP_2)
	v_sub_nc_u32_e32 v1, 0x3f1, v29
	v_or_b32_e32 v7, 0x1000, v28
	s_delay_alu instid0(VALU_DEP_2) | instskip(NEXT) | instid1(VALU_DEP_1)
	v_med3_i32 v1, v1, 0, 13
	v_lshrrev_b32_e32 v30, v1, v7
	s_delay_alu instid0(VALU_DEP_1) | instskip(NEXT) | instid1(VALU_DEP_1)
	v_lshlrev_b32_e32 v1, v1, v30
	v_cmp_ne_u32_e64 s0, v1, v7
	v_cvt_f32_f16_e32 v1, v22
	scratch_load_b32 v22, off, off offset:116 ; 4-byte Folded Reload
	v_cvt_f64_f32_e32 v[18:19], v1
	s_delay_alu instid0(VALU_DEP_1) | instskip(NEXT) | instid1(VALU_DEP_1)
	v_mul_f64 v[18:19], v[18:19], s[10:11]
	v_and_or_b32 v1, 0x1ff, v19, v18
	v_lshrrev_b32_e32 v7, 8, v19
	v_bfe_u32 v9, v19, 20, 11
	s_delay_alu instid0(VALU_DEP_3) | instskip(SKIP_1) | instid1(VALU_DEP_1)
	v_cmp_ne_u32_e32 vcc_lo, 0, v1
	v_cndmask_b32_e64 v1, 0, 1, vcc_lo
	v_and_or_b32 v7, 0xffe, v7, v1
	s_delay_alu instid0(VALU_DEP_4) | instskip(NEXT) | instid1(VALU_DEP_2)
	v_sub_nc_u32_e32 v1, 0x3f1, v9
	v_or_b32_e32 v18, 0x1000, v7
	s_delay_alu instid0(VALU_DEP_2) | instskip(NEXT) | instid1(VALU_DEP_1)
	v_med3_i32 v1, v1, 0, 13
	v_lshrrev_b32_e32 v13, v1, v18
	s_delay_alu instid0(VALU_DEP_1) | instskip(NEXT) | instid1(VALU_DEP_1)
	v_lshlrev_b32_e32 v1, v1, v13
	v_cmp_ne_u32_e32 vcc_lo, v1, v18
	v_lshrrev_b32_e32 v18, 16, v15
	s_waitcnt vmcnt(0)
	s_delay_alu instid0(VALU_DEP_1) | instskip(SKIP_1) | instid1(VALU_DEP_2)
	v_mul_f16_e32 v1, v22, v18
	v_mul_f16_e32 v22, v22, v15
	v_fmac_f16_e32 v1, v23, v15
	s_delay_alu instid0(VALU_DEP_2) | instskip(SKIP_1) | instid1(VALU_DEP_3)
	v_fma_f16 v31, v23, v18, -v22
	v_cvt_f64_f32_e32 v[22:23], v5
	v_cvt_f32_f16_e32 v1, v1
	s_delay_alu instid0(VALU_DEP_2) | instskip(NEXT) | instid1(VALU_DEP_1)
	v_mul_f64 v[22:23], v[22:23], s[10:11]
	v_and_or_b32 v5, 0x1ff, v23, v22
	v_lshrrev_b32_e32 v15, 8, v23
	s_delay_alu instid0(VALU_DEP_2) | instskip(NEXT) | instid1(VALU_DEP_1)
	v_cmp_ne_u32_e64 s2, 0, v5
	v_cndmask_b32_e64 v5, 0, 1, s2
	s_delay_alu instid0(VALU_DEP_1) | instskip(SKIP_1) | instid1(VALU_DEP_2)
	v_and_or_b32 v5, 0xffe, v15, v5
	v_bfe_u32 v15, v23, 20, 11
	v_or_b32_e32 v22, 0x1000, v5
	s_delay_alu instid0(VALU_DEP_2) | instskip(SKIP_1) | instid1(VALU_DEP_2)
	v_sub_nc_u32_e32 v18, 0x3f1, v15
	v_add_nc_u32_e32 v15, 0xfffffc10, v15
	v_med3_i32 v18, v18, 0, 13
	s_delay_alu instid0(VALU_DEP_1) | instskip(NEXT) | instid1(VALU_DEP_1)
	v_lshrrev_b32_e32 v32, v18, v22
	v_lshlrev_b32_e32 v18, v18, v32
	s_delay_alu instid0(VALU_DEP_1) | instskip(SKIP_1) | instid1(VALU_DEP_2)
	v_cmp_ne_u32_e64 s2, v18, v22
	v_lshl_or_b32 v22, v15, 12, v5
	v_cndmask_b32_e64 v18, 0, 1, s2
	v_cmp_gt_i32_e64 s2, 1, v15
	s_delay_alu instid0(VALU_DEP_2) | instskip(NEXT) | instid1(VALU_DEP_1)
	v_or_b32_e32 v18, v32, v18
	v_cndmask_b32_e64 v18, v22, v18, s2
	s_delay_alu instid0(VALU_DEP_1) | instskip(SKIP_1) | instid1(VALU_DEP_2)
	v_and_b32_e32 v22, 7, v18
	v_lshrrev_b32_e32 v18, 2, v18
	v_cmp_lt_i32_e64 s2, 5, v22
	v_cmp_eq_u32_e64 s3, 3, v22
	v_cndmask_b32_e64 v22, 0, 1, s1
	v_cmp_ne_u32_e64 s1, 0, v5
	v_add_nc_u32_e32 v5, 0xfffffc10, v25
	s_delay_alu instid0(VALU_DEP_4) | instskip(NEXT) | instid1(VALU_DEP_3)
	s_or_b32 s2, s3, s2
	v_or_b32_e32 v22, v26, v22
	v_add_co_ci_u32_e64 v18, s2, 0, v18, s2
	s_delay_alu instid0(VALU_DEP_3) | instskip(SKIP_3) | instid1(VALU_DEP_3)
	v_lshl_or_b32 v25, v5, 12, v24
	v_cmp_gt_i32_e64 s4, 1, v5
	v_cmp_gt_i32_e64 s2, 31, v15
	v_cmp_ne_u32_e64 s3, 0, v24
	v_cndmask_b32_e64 v22, v25, v22, s4
	v_cndmask_b32_e64 v25, 0, 1, s1
	s_delay_alu instid0(VALU_DEP_4) | instskip(SKIP_1) | instid1(VALU_DEP_3)
	v_cndmask_b32_e64 v18, 0x7c00, v18, s2
	v_cmp_eq_u32_e64 s1, 0x40f, v15
	v_lshl_or_b32 v25, v25, 9, 0x7c00
	s_delay_alu instid0(VALU_DEP_1) | instskip(SKIP_3) | instid1(VALU_DEP_3)
	v_cndmask_b32_e64 v15, v18, v25, s1
	v_lshrrev_b32_e32 v18, 16, v23
	v_and_b32_e32 v23, 7, v22
	v_lshrrev_b32_e32 v22, 2, v22
	v_and_or_b32 v15, 0x8000, v18, v15
	s_delay_alu instid0(VALU_DEP_3) | instskip(SKIP_2) | instid1(VALU_DEP_4)
	v_cmp_lt_i32_e64 s1, 5, v23
	v_cmp_eq_u32_e64 s2, 3, v23
	v_cndmask_b32_e64 v23, 0, 1, s3
	v_and_b32_e32 v15, 0xffff, v15
	s_delay_alu instid0(VALU_DEP_3) | instskip(NEXT) | instid1(VALU_DEP_2)
	s_or_b32 s1, s2, s1
	v_lshl_or_b32 v23, v23, 9, 0x7c00
	v_add_co_ci_u32_e64 v22, s1, 0, v22, s1
	v_cmp_gt_i32_e64 s1, 31, v5
	s_delay_alu instid0(VALU_DEP_1) | instskip(SKIP_1) | instid1(VALU_DEP_1)
	v_cndmask_b32_e64 v22, 0x7c00, v22, s1
	v_cmp_eq_u32_e64 s1, 0x40f, v5
	v_cndmask_b32_e64 v5, v22, v23, s1
	s_delay_alu instid0(VALU_DEP_1) | instskip(SKIP_1) | instid1(VALU_DEP_1)
	v_and_or_b32 v5, 0x8000, v21, v5
	v_add_co_u32 v21, s1, v10, s13
	v_add_co_ci_u32_e64 v22, s1, s12, v11, s1
	s_delay_alu instid0(VALU_DEP_3)
	v_lshl_or_b32 v5, v5, 16, v15
	global_store_b32 v[10:11], v5, off
	ds_load_2addr_b32 v[10:11], v108 offset0:64 offset1:164
	s_waitcnt lgkmcnt(0)
	v_lshrrev_b32_e32 v25, 16, v10
	v_mul_f16_e32 v5, v35, v10
	s_delay_alu instid0(VALU_DEP_1) | instskip(NEXT) | instid1(VALU_DEP_1)
	v_fma_f16 v5, v34, v25, -v5
	v_cvt_f32_f16_e32 v5, v5
	s_delay_alu instid0(VALU_DEP_1) | instskip(NEXT) | instid1(VALU_DEP_1)
	v_cvt_f64_f32_e32 v[23:24], v5
	v_mul_f64 v[23:24], v[23:24], s[10:11]
	s_delay_alu instid0(VALU_DEP_1) | instskip(SKIP_2) | instid1(VALU_DEP_3)
	v_and_or_b32 v5, 0x1ff, v24, v23
	v_lshrrev_b32_e32 v15, 8, v24
	v_bfe_u32 v26, v24, 20, 11
	v_cmp_ne_u32_e64 s1, 0, v5
	s_delay_alu instid0(VALU_DEP_1) | instskip(NEXT) | instid1(VALU_DEP_1)
	v_cndmask_b32_e64 v5, 0, 1, s1
	v_and_or_b32 v23, 0xffe, v15, v5
	s_delay_alu instid0(VALU_DEP_4) | instskip(NEXT) | instid1(VALU_DEP_2)
	v_sub_nc_u32_e32 v5, 0x3f1, v26
	v_or_b32_e32 v15, 0x1000, v23
	s_delay_alu instid0(VALU_DEP_2) | instskip(NEXT) | instid1(VALU_DEP_1)
	v_med3_i32 v5, v5, 0, 13
	v_lshrrev_b32_e32 v32, v5, v15
	s_delay_alu instid0(VALU_DEP_1) | instskip(NEXT) | instid1(VALU_DEP_1)
	v_lshlrev_b32_e32 v5, v5, v32
	v_cmp_ne_u32_e64 s1, v5, v15
	v_mul_f16_e32 v5, v36, v27
	s_delay_alu instid0(VALU_DEP_1) | instskip(NEXT) | instid1(VALU_DEP_1)
	v_fmac_f16_e32 v5, v33, v16
	v_cvt_f32_f16_e32 v5, v5
	s_delay_alu instid0(VALU_DEP_1) | instskip(NEXT) | instid1(VALU_DEP_1)
	v_cvt_f64_f32_e32 v[15:16], v5
	v_mul_f64 v[15:16], v[15:16], s[10:11]
	s_delay_alu instid0(VALU_DEP_1) | instskip(SKIP_1) | instid1(VALU_DEP_2)
	v_and_or_b32 v5, 0x1ff, v16, v15
	v_lshrrev_b32_e32 v15, 8, v16
	v_cmp_ne_u32_e64 s2, 0, v5
	s_delay_alu instid0(VALU_DEP_1) | instskip(NEXT) | instid1(VALU_DEP_1)
	v_cndmask_b32_e64 v5, 0, 1, s2
	v_and_or_b32 v5, 0xffe, v15, v5
	v_bfe_u32 v15, v16, 20, 11
	v_lshrrev_b32_e32 v16, 16, v16
	s_delay_alu instid0(VALU_DEP_3) | instskip(NEXT) | instid1(VALU_DEP_3)
	v_or_b32_e32 v27, 0x1000, v5
	v_sub_nc_u32_e32 v18, 0x3f1, v15
	v_add_nc_u32_e32 v15, 0xfffffc10, v15
	s_delay_alu instid0(VALU_DEP_2) | instskip(NEXT) | instid1(VALU_DEP_1)
	v_med3_i32 v18, v18, 0, 13
	v_lshrrev_b32_e32 v33, v18, v27
	s_delay_alu instid0(VALU_DEP_1) | instskip(NEXT) | instid1(VALU_DEP_1)
	v_lshlrev_b32_e32 v18, v18, v33
	v_cmp_ne_u32_e64 s2, v18, v27
	v_lshl_or_b32 v27, v15, 12, v5
	s_delay_alu instid0(VALU_DEP_2) | instskip(SKIP_1) | instid1(VALU_DEP_2)
	v_cndmask_b32_e64 v18, 0, 1, s2
	v_cmp_gt_i32_e64 s2, 1, v15
	v_or_b32_e32 v18, v33, v18
	s_delay_alu instid0(VALU_DEP_1) | instskip(NEXT) | instid1(VALU_DEP_1)
	v_cndmask_b32_e64 v18, v27, v18, s2
	v_and_b32_e32 v27, 7, v18
	v_lshrrev_b32_e32 v18, 2, v18
	s_delay_alu instid0(VALU_DEP_2) | instskip(SKIP_4) | instid1(VALU_DEP_4)
	v_cmp_lt_i32_e64 s2, 5, v27
	v_cmp_eq_u32_e64 s3, 3, v27
	v_cndmask_b32_e64 v27, 0, 1, s0
	v_cmp_ne_u32_e64 s0, 0, v5
	v_add_nc_u32_e32 v5, 0xfffffc10, v29
	s_or_b32 s2, s3, s2
	s_delay_alu instid0(VALU_DEP_3) | instskip(SKIP_1) | instid1(VALU_DEP_3)
	v_or_b32_e32 v27, v30, v27
	v_add_co_ci_u32_e64 v18, s2, 0, v18, s2
	v_lshl_or_b32 v29, v5, 12, v28
	v_cmp_gt_i32_e64 s4, 1, v5
	v_cmp_gt_i32_e64 s2, 31, v15
	v_cmp_ne_u32_e64 s3, 0, v28
	s_delay_alu instid0(VALU_DEP_3) | instskip(SKIP_1) | instid1(VALU_DEP_4)
	v_cndmask_b32_e64 v27, v29, v27, s4
	v_cndmask_b32_e64 v29, 0, 1, s0
	;; [unrolled: 1-line block ×3, first 2 shown]
	v_cmp_eq_u32_e64 s0, 0x40f, v15
	s_delay_alu instid0(VALU_DEP_3) | instskip(NEXT) | instid1(VALU_DEP_1)
	v_lshl_or_b32 v29, v29, 9, 0x7c00
	v_cndmask_b32_e64 v15, v18, v29, s0
	v_and_b32_e32 v18, 7, v27
	s_delay_alu instid0(VALU_DEP_2) | instskip(NEXT) | instid1(VALU_DEP_2)
	v_and_or_b32 v15, 0x8000, v16, v15
	v_cmp_lt_i32_e64 s0, 5, v18
	v_cmp_eq_u32_e64 s2, 3, v18
	v_lshrrev_b32_e32 v18, 2, v27
	v_cndmask_b32_e64 v27, 0, 1, s3
	v_and_b32_e32 v15, 0xffff, v15
	s_delay_alu instid0(VALU_DEP_4)
	s_or_b32 s0, s2, s0
	s_delay_alu instid0(VALU_DEP_3) | instid1(SALU_CYCLE_1)
	v_add_co_ci_u32_e64 v18, s0, 0, v18, s0
	v_cmp_gt_i32_e64 s0, 31, v5
	v_lshl_or_b32 v27, v27, 9, 0x7c00
	s_delay_alu instid0(VALU_DEP_2) | instskip(SKIP_1) | instid1(VALU_DEP_1)
	v_cndmask_b32_e64 v18, 0x7c00, v18, s0
	v_cmp_eq_u32_e64 s0, 0x40f, v5
	v_cndmask_b32_e64 v5, v18, v27, s0
	v_lshrrev_b32_e32 v18, 16, v20
	s_delay_alu instid0(VALU_DEP_1) | instskip(NEXT) | instid1(VALU_DEP_1)
	v_and_or_b32 v5, 0x8000, v18, v5
	v_lshl_or_b32 v5, v5, 16, v15
	v_add_co_u32 v15, s0, v21, s13
	s_delay_alu instid0(VALU_DEP_1) | instskip(SKIP_2) | instid1(VALU_DEP_1)
	v_add_co_ci_u32_e64 v16, s0, s12, v22, s0
	global_store_b32 v[21:22], v5, off
	v_cvt_f64_f32_e32 v[20:21], v3
	v_mul_f64 v[20:21], v[20:21], s[10:11]
	s_delay_alu instid0(VALU_DEP_1) | instskip(SKIP_1) | instid1(VALU_DEP_2)
	v_and_or_b32 v3, 0x1ff, v21, v20
	v_lshrrev_b32_e32 v5, 8, v21
	v_cmp_ne_u32_e64 s0, 0, v3
	s_delay_alu instid0(VALU_DEP_1) | instskip(NEXT) | instid1(VALU_DEP_1)
	v_cndmask_b32_e64 v3, 0, 1, s0
	v_and_or_b32 v3, 0xffe, v5, v3
	v_bfe_u32 v5, v21, 20, 11
	s_delay_alu instid0(VALU_DEP_2) | instskip(NEXT) | instid1(VALU_DEP_2)
	v_or_b32_e32 v20, 0x1000, v3
	v_sub_nc_u32_e32 v18, 0x3f1, v5
	v_add_nc_u32_e32 v5, 0xfffffc10, v5
	s_delay_alu instid0(VALU_DEP_2) | instskip(NEXT) | instid1(VALU_DEP_1)
	v_med3_i32 v18, v18, 0, 13
	v_lshrrev_b32_e32 v22, v18, v20
	s_delay_alu instid0(VALU_DEP_1) | instskip(NEXT) | instid1(VALU_DEP_1)
	v_lshlrev_b32_e32 v18, v18, v22
	v_cmp_ne_u32_e64 s0, v18, v20
	v_lshl_or_b32 v20, v5, 12, v3
	s_delay_alu instid0(VALU_DEP_2) | instskip(SKIP_1) | instid1(VALU_DEP_2)
	v_cndmask_b32_e64 v18, 0, 1, s0
	v_cmp_gt_i32_e64 s0, 1, v5
	v_or_b32_e32 v18, v22, v18
	s_delay_alu instid0(VALU_DEP_1) | instskip(NEXT) | instid1(VALU_DEP_1)
	v_cndmask_b32_e64 v18, v20, v18, s0
	v_and_b32_e32 v20, 7, v18
	s_delay_alu instid0(VALU_DEP_1) | instskip(SKIP_4) | instid1(VALU_DEP_4)
	v_cmp_lt_i32_e64 s0, 5, v20
	v_cmp_eq_u32_e64 s2, 3, v20
	v_cndmask_b32_e64 v20, 0, 1, vcc_lo
	v_cmp_ne_u32_e32 vcc_lo, 0, v3
	v_add_nc_u32_e32 v3, 0xfffffc10, v9
	s_or_b32 s0, s2, s0
	s_delay_alu instid0(VALU_DEP_3) | instskip(SKIP_1) | instid1(VALU_DEP_3)
	v_or_b32_e32 v13, v13, v20
	v_cmp_ne_u32_e64 s2, 0, v7
	v_lshl_or_b32 v9, v3, 12, v7
	v_cmp_gt_i32_e64 s3, 1, v3
	v_lshrrev_b32_e32 v7, 16, v21
	scratch_load_b32 v20, off, off offset:96 ; 4-byte Folded Reload
	v_cndmask_b32_e64 v9, v9, v13, s3
	v_lshrrev_b32_e32 v13, 2, v18
	v_cndmask_b32_e64 v18, 0, 1, vcc_lo
	v_cmp_eq_u32_e32 vcc_lo, 0x40f, v5
	s_delay_alu instid0(VALU_DEP_3) | instskip(SKIP_1) | instid1(VALU_DEP_4)
	v_add_co_ci_u32_e64 v13, s0, 0, v13, s0
	v_cmp_gt_i32_e64 s0, 31, v5
	v_lshl_or_b32 v18, v18, 9, 0x7c00
	s_delay_alu instid0(VALU_DEP_2) | instskip(NEXT) | instid1(VALU_DEP_1)
	v_cndmask_b32_e64 v13, 0x7c00, v13, s0
	v_cndmask_b32_e32 v5, v13, v18, vcc_lo
	v_and_b32_e32 v13, 7, v9
	v_lshrrev_b32_e32 v9, 2, v9
	s_delay_alu instid0(VALU_DEP_3) | instskip(NEXT) | instid1(VALU_DEP_3)
	v_and_or_b32 v5, 0x8000, v7, v5
	v_cmp_lt_i32_e32 vcc_lo, 5, v13
	v_cmp_eq_u32_e64 s0, 3, v13
	v_cndmask_b32_e64 v13, 0, 1, s2
	s_delay_alu instid0(VALU_DEP_4) | instskip(NEXT) | instid1(VALU_DEP_3)
	v_and_b32_e32 v5, 0xffff, v5
	s_or_b32 vcc_lo, s0, vcc_lo
	s_delay_alu instid0(VALU_DEP_2) | instskip(SKIP_2) | instid1(VALU_DEP_2)
	v_lshl_or_b32 v13, v13, 9, 0x7c00
	v_add_co_ci_u32_e32 v9, vcc_lo, 0, v9, vcc_lo
	v_cmp_gt_i32_e32 vcc_lo, 31, v3
	v_cndmask_b32_e32 v9, 0x7c00, v9, vcc_lo
	v_cmp_eq_u32_e32 vcc_lo, 0x40f, v3
	s_delay_alu instid0(VALU_DEP_2) | instskip(SKIP_3) | instid1(VALU_DEP_3)
	v_cndmask_b32_e32 v3, v9, v13, vcc_lo
	v_lshrrev_b32_e32 v9, 16, v19
	v_add_co_u32 v18, vcc_lo, v15, s13
	v_add_co_ci_u32_e32 v19, vcc_lo, s12, v16, vcc_lo
	v_and_or_b32 v3, 0x8000, v9, v3
	s_delay_alu instid0(VALU_DEP_1) | instskip(SKIP_2) | instid1(VALU_DEP_1)
	v_lshl_or_b32 v3, v3, 16, v5
	global_store_b32 v[15:16], v3, off
	v_cvt_f32_f16_e32 v3, v31
	v_cvt_f64_f32_e32 v[15:16], v3
	s_delay_alu instid0(VALU_DEP_1) | instskip(NEXT) | instid1(VALU_DEP_1)
	v_mul_f64 v[15:16], v[15:16], s[10:11]
	v_and_or_b32 v3, 0x1ff, v16, v15
	scratch_load_b32 v15, off, off offset:100 ; 4-byte Folded Reload
	v_lshrrev_b32_e32 v5, 8, v16
	v_bfe_u32 v7, v16, 20, 11
	v_cmp_ne_u32_e32 vcc_lo, 0, v3
	v_cndmask_b32_e64 v3, 0, 1, vcc_lo
	s_delay_alu instid0(VALU_DEP_1) | instskip(NEXT) | instid1(VALU_DEP_4)
	v_and_or_b32 v5, 0xffe, v5, v3
	v_sub_nc_u32_e32 v3, 0x3f1, v7
	s_delay_alu instid0(VALU_DEP_2) | instskip(NEXT) | instid1(VALU_DEP_2)
	v_or_b32_e32 v9, 0x1000, v5
	v_med3_i32 v3, v3, 0, 13
	s_delay_alu instid0(VALU_DEP_1) | instskip(NEXT) | instid1(VALU_DEP_1)
	v_lshrrev_b32_e32 v13, v3, v9
	v_lshlrev_b32_e32 v3, v3, v13
	s_delay_alu instid0(VALU_DEP_1) | instskip(SKIP_2) | instid1(VALU_DEP_1)
	v_cmp_ne_u32_e32 vcc_lo, v3, v9
	v_lshrrev_b32_e32 v9, 16, v14
	s_waitcnt vmcnt(0)
	v_mul_f16_e32 v3, v15, v9
	v_mul_f16_e32 v15, v15, v14
	s_delay_alu instid0(VALU_DEP_2) | instskip(NEXT) | instid1(VALU_DEP_2)
	v_fmac_f16_e32 v3, v20, v14
	v_fma_f16 v20, v20, v9, -v15
	v_mul_f16_e32 v9, v35, v25
	s_delay_alu instid0(VALU_DEP_3) | instskip(NEXT) | instid1(VALU_DEP_3)
	v_cvt_f32_f16_e32 v3, v3
	v_cvt_f32_f16_e32 v20, v20
	s_delay_alu instid0(VALU_DEP_3) | instskip(NEXT) | instid1(VALU_DEP_1)
	v_fmac_f16_e32 v9, v34, v10
	v_cvt_f32_f16_e32 v9, v9
	s_delay_alu instid0(VALU_DEP_1) | instskip(NEXT) | instid1(VALU_DEP_1)
	v_cvt_f64_f32_e32 v[9:10], v9
	v_mul_f64 v[9:10], v[9:10], s[10:11]
	s_delay_alu instid0(VALU_DEP_1) | instskip(SKIP_1) | instid1(VALU_DEP_2)
	v_and_or_b32 v9, 0x1ff, v10, v9
	v_lshrrev_b32_e32 v14, 8, v10
	v_cmp_ne_u32_e64 s0, 0, v9
	s_delay_alu instid0(VALU_DEP_1) | instskip(NEXT) | instid1(VALU_DEP_1)
	v_cndmask_b32_e64 v9, 0, 1, s0
	v_and_or_b32 v9, 0xffe, v14, v9
	v_bfe_u32 v14, v10, 20, 11
	v_lshrrev_b32_e32 v10, 16, v10
	s_delay_alu instid0(VALU_DEP_3) | instskip(NEXT) | instid1(VALU_DEP_3)
	v_or_b32_e32 v21, 0x1000, v9
	v_sub_nc_u32_e32 v15, 0x3f1, v14
	v_add_nc_u32_e32 v14, 0xfffffc10, v14
	s_delay_alu instid0(VALU_DEP_2) | instskip(NEXT) | instid1(VALU_DEP_1)
	v_med3_i32 v15, v15, 0, 13
	v_lshrrev_b32_e32 v22, v15, v21
	s_delay_alu instid0(VALU_DEP_1) | instskip(NEXT) | instid1(VALU_DEP_1)
	v_lshlrev_b32_e32 v15, v15, v22
	v_cmp_ne_u32_e64 s0, v15, v21
	v_lshl_or_b32 v21, v14, 12, v9
	s_delay_alu instid0(VALU_DEP_2) | instskip(SKIP_1) | instid1(VALU_DEP_2)
	v_cndmask_b32_e64 v15, 0, 1, s0
	v_cmp_gt_i32_e64 s0, 1, v14
	v_or_b32_e32 v15, v22, v15
	s_delay_alu instid0(VALU_DEP_1) | instskip(NEXT) | instid1(VALU_DEP_1)
	v_cndmask_b32_e64 v15, v21, v15, s0
	v_and_b32_e32 v21, 7, v15
	v_lshrrev_b32_e32 v15, 2, v15
	s_delay_alu instid0(VALU_DEP_2) | instskip(SKIP_4) | instid1(VALU_DEP_4)
	v_cmp_lt_i32_e64 s0, 5, v21
	v_cmp_eq_u32_e64 s2, 3, v21
	v_cndmask_b32_e64 v21, 0, 1, s1
	v_cmp_ne_u32_e64 s1, 0, v9
	v_add_nc_u32_e32 v9, 0xfffffc10, v26
	s_or_b32 s0, s2, s0
	s_delay_alu instid0(VALU_DEP_3) | instskip(SKIP_1) | instid1(VALU_DEP_3)
	v_or_b32_e32 v21, v32, v21
	v_add_co_ci_u32_e64 v15, s0, 0, v15, s0
	v_lshl_or_b32 v22, v9, 12, v23
	v_cmp_gt_i32_e64 s3, 1, v9
	v_cmp_gt_i32_e64 s0, 31, v14
	v_cmp_ne_u32_e64 s2, 0, v23
	scratch_load_b32 v23, off, off offset:80 ; 4-byte Folded Reload
	v_cndmask_b32_e64 v21, v22, v21, s3
	v_cndmask_b32_e64 v22, 0, 1, s1
	;; [unrolled: 1-line block ×3, first 2 shown]
	v_cmp_eq_u32_e64 s0, 0x40f, v14
	s_delay_alu instid0(VALU_DEP_3) | instskip(NEXT) | instid1(VALU_DEP_1)
	v_lshl_or_b32 v22, v22, 9, 0x7c00
	v_cndmask_b32_e64 v14, v15, v22, s0
	v_and_b32_e32 v15, 7, v21
	s_delay_alu instid0(VALU_DEP_2) | instskip(NEXT) | instid1(VALU_DEP_2)
	v_and_or_b32 v10, 0x8000, v10, v14
	v_cmp_lt_i32_e64 s0, 5, v15
	v_cmp_eq_u32_e64 s1, 3, v15
	v_lshrrev_b32_e32 v15, 2, v21
	v_cndmask_b32_e64 v21, 0, 1, s2
	v_and_b32_e32 v10, 0xffff, v10
	s_delay_alu instid0(VALU_DEP_4)
	s_or_b32 s0, s1, s0
	s_delay_alu instid0(VALU_DEP_3) | instid1(SALU_CYCLE_1)
	v_add_co_ci_u32_e64 v15, s0, 0, v15, s0
	v_cmp_gt_i32_e64 s0, 31, v9
	v_lshl_or_b32 v21, v21, 9, 0x7c00
	s_delay_alu instid0(VALU_DEP_2) | instskip(SKIP_1) | instid1(VALU_DEP_1)
	v_cndmask_b32_e64 v15, 0x7c00, v15, s0
	v_cmp_eq_u32_e64 s0, 0x40f, v9
	v_cndmask_b32_e64 v9, v15, v21, s0
	v_lshrrev_b32_e32 v15, 16, v24
	v_add_co_u32 v14, s0, v18, s13
	s_delay_alu instid0(VALU_DEP_2) | instskip(SKIP_1) | instid1(VALU_DEP_2)
	v_and_or_b32 v9, 0x8000, v15, v9
	v_add_co_ci_u32_e64 v15, s0, s12, v19, s0
	v_lshl_or_b32 v9, v9, 16, v10
	global_store_b32 v[18:19], v9, off
	ds_load_2addr_b32 v[9:10], v183 offset0:152 offset1:252
	s_waitcnt lgkmcnt(0)
	v_lshrrev_b32_e32 v29, 16, v9
	v_mul_f16_e32 v18, v38, v9
	s_delay_alu instid0(VALU_DEP_1) | instskip(NEXT) | instid1(VALU_DEP_1)
	v_fma_f16 v18, v37, v29, -v18
	v_cvt_f32_f16_e32 v18, v18
	s_delay_alu instid0(VALU_DEP_1) | instskip(NEXT) | instid1(VALU_DEP_1)
	v_cvt_f64_f32_e32 v[18:19], v18
	v_mul_f64 v[18:19], v[18:19], s[10:11]
	s_delay_alu instid0(VALU_DEP_1) | instskip(SKIP_2) | instid1(VALU_DEP_3)
	v_and_or_b32 v18, 0x1ff, v19, v18
	v_lshrrev_b32_e32 v21, 8, v19
	v_bfe_u32 v26, v19, 20, 11
	v_cmp_ne_u32_e64 s0, 0, v18
	s_delay_alu instid0(VALU_DEP_1) | instskip(NEXT) | instid1(VALU_DEP_1)
	v_cndmask_b32_e64 v18, 0, 1, s0
	v_and_or_b32 v18, 0xffe, v21, v18
	s_delay_alu instid0(VALU_DEP_4) | instskip(NEXT) | instid1(VALU_DEP_2)
	v_sub_nc_u32_e32 v21, 0x3f1, v26
	v_or_b32_e32 v22, 0x1000, v18
	s_delay_alu instid0(VALU_DEP_2) | instskip(NEXT) | instid1(VALU_DEP_1)
	v_med3_i32 v21, v21, 0, 13
	v_lshrrev_b32_e32 v28, v21, v22
	s_delay_alu instid0(VALU_DEP_1) | instskip(NEXT) | instid1(VALU_DEP_1)
	v_lshlrev_b32_e32 v21, v21, v28
	v_cmp_ne_u32_e64 s0, v21, v22
	v_cvt_f64_f32_e32 v[20:21], v20
	s_delay_alu instid0(VALU_DEP_1) | instskip(NEXT) | instid1(VALU_DEP_1)
	v_mul_f64 v[20:21], v[20:21], s[10:11]
	v_and_or_b32 v20, 0x1ff, v21, v20
	v_lshrrev_b32_e32 v22, 8, v21
	v_bfe_u32 v30, v21, 20, 11
	s_delay_alu instid0(VALU_DEP_3) | instskip(NEXT) | instid1(VALU_DEP_1)
	v_cmp_ne_u32_e64 s1, 0, v20
	v_cndmask_b32_e64 v20, 0, 1, s1
	s_delay_alu instid0(VALU_DEP_1) | instskip(NEXT) | instid1(VALU_DEP_4)
	v_and_or_b32 v27, 0xffe, v22, v20
	v_sub_nc_u32_e32 v20, 0x3f1, v30
	s_delay_alu instid0(VALU_DEP_2) | instskip(NEXT) | instid1(VALU_DEP_2)
	v_or_b32_e32 v22, 0x1000, v27
	v_med3_i32 v20, v20, 0, 13
	s_delay_alu instid0(VALU_DEP_1) | instskip(NEXT) | instid1(VALU_DEP_1)
	v_lshrrev_b32_e32 v31, v20, v22
	v_lshlrev_b32_e32 v20, v20, v31
	s_delay_alu instid0(VALU_DEP_1) | instskip(SKIP_3) | instid1(VALU_DEP_1)
	v_cmp_ne_u32_e64 s2, v20, v22
	scratch_load_b32 v22, off, off offset:84 ; 4-byte Folded Reload
	v_lshrrev_b32_e32 v20, 16, v8
	s_waitcnt vmcnt(0)
	v_mul_f16_e32 v24, v22, v20
	v_mul_f16_e32 v22, v22, v8
	s_delay_alu instid0(VALU_DEP_2) | instskip(NEXT) | instid1(VALU_DEP_2)
	v_fmac_f16_e32 v24, v23, v8
	v_fma_f16 v34, v23, v20, -v22
	v_cvt_f64_f32_e32 v[22:23], v1
	s_delay_alu instid0(VALU_DEP_1) | instskip(NEXT) | instid1(VALU_DEP_1)
	v_mul_f64 v[22:23], v[22:23], s[10:11]
	v_and_or_b32 v1, 0x1ff, v23, v22
	v_lshrrev_b32_e32 v8, 8, v23
	s_delay_alu instid0(VALU_DEP_2) | instskip(NEXT) | instid1(VALU_DEP_1)
	v_cmp_ne_u32_e64 s1, 0, v1
	v_cndmask_b32_e64 v1, 0, 1, s1
	s_delay_alu instid0(VALU_DEP_1) | instskip(SKIP_1) | instid1(VALU_DEP_2)
	v_and_or_b32 v1, 0xffe, v8, v1
	v_bfe_u32 v8, v23, 20, 11
	v_or_b32_e32 v22, 0x1000, v1
	s_delay_alu instid0(VALU_DEP_2) | instskip(SKIP_1) | instid1(VALU_DEP_2)
	v_sub_nc_u32_e32 v20, 0x3f1, v8
	v_add_nc_u32_e32 v8, 0xfffffc10, v8
	v_med3_i32 v20, v20, 0, 13
	s_delay_alu instid0(VALU_DEP_1) | instskip(NEXT) | instid1(VALU_DEP_1)
	v_lshrrev_b32_e32 v25, v20, v22
	v_lshlrev_b32_e32 v20, v20, v25
	s_delay_alu instid0(VALU_DEP_1) | instskip(SKIP_1) | instid1(VALU_DEP_2)
	v_cmp_ne_u32_e64 s1, v20, v22
	v_lshl_or_b32 v22, v8, 12, v1
	v_cndmask_b32_e64 v20, 0, 1, s1
	v_cmp_gt_i32_e64 s1, 1, v8
	s_delay_alu instid0(VALU_DEP_2) | instskip(NEXT) | instid1(VALU_DEP_1)
	v_or_b32_e32 v20, v25, v20
	v_cndmask_b32_e64 v20, v22, v20, s1
	s_delay_alu instid0(VALU_DEP_1) | instskip(NEXT) | instid1(VALU_DEP_1)
	v_and_b32_e32 v22, 7, v20
	v_cmp_lt_i32_e64 s1, 5, v22
	v_cmp_eq_u32_e64 s3, 3, v22
	v_cndmask_b32_e64 v22, 0, 1, vcc_lo
	v_cmp_ne_u32_e32 vcc_lo, 0, v1
	v_add_nc_u32_e32 v1, 0xfffffc10, v7
	s_delay_alu instid0(VALU_DEP_4) | instskip(NEXT) | instid1(VALU_DEP_3)
	s_or_b32 s1, s3, s1
	v_or_b32_e32 v13, v13, v22
	v_cmp_ne_u32_e64 s3, 0, v5
	s_delay_alu instid0(VALU_DEP_3) | instskip(SKIP_1) | instid1(VALU_DEP_1)
	v_lshl_or_b32 v7, v1, 12, v5
	v_cmp_gt_i32_e64 s4, 1, v1
	v_cndmask_b32_e64 v7, v7, v13, s4
	v_lshrrev_b32_e32 v13, 2, v20
	v_cndmask_b32_e64 v20, 0, 1, vcc_lo
	v_cmp_eq_u32_e32 vcc_lo, 0x40f, v8
	s_delay_alu instid0(VALU_DEP_4) | instskip(NEXT) | instid1(VALU_DEP_4)
	v_lshrrev_b32_e32 v5, 2, v7
	v_add_co_ci_u32_e64 v13, s1, 0, v13, s1
	v_cmp_gt_i32_e64 s1, 31, v8
	v_lshl_or_b32 v20, v20, 9, 0x7c00
	s_delay_alu instid0(VALU_DEP_2) | instskip(NEXT) | instid1(VALU_DEP_1)
	v_cndmask_b32_e64 v13, 0x7c00, v13, s1
	v_cndmask_b32_e32 v8, v13, v20, vcc_lo
	v_and_b32_e32 v20, 7, v7
	v_cndmask_b32_e64 v7, 0, 1, s3
	v_lshrrev_b32_e32 v13, 16, v23
	s_delay_alu instid0(VALU_DEP_3) | instskip(SKIP_1) | instid1(VALU_DEP_4)
	v_cmp_lt_i32_e32 vcc_lo, 5, v20
	v_cmp_eq_u32_e64 s1, 3, v20
	v_lshl_or_b32 v7, v7, 9, 0x7c00
	s_delay_alu instid0(VALU_DEP_2) | instskip(SKIP_2) | instid1(VALU_DEP_2)
	s_or_b32 vcc_lo, s1, vcc_lo
	v_add_co_ci_u32_e32 v5, vcc_lo, 0, v5, vcc_lo
	v_cmp_gt_i32_e32 vcc_lo, 31, v1
	v_cndmask_b32_e32 v5, 0x7c00, v5, vcc_lo
	v_cmp_eq_u32_e32 vcc_lo, 0x40f, v1
	s_delay_alu instid0(VALU_DEP_2) | instskip(SKIP_4) | instid1(VALU_DEP_4)
	v_cndmask_b32_e32 v1, v5, v7, vcc_lo
	v_lshrrev_b32_e32 v5, 16, v16
	v_and_or_b32 v7, 0x8000, v13, v8
	v_add_co_u32 v32, vcc_lo, v14, s13
	v_add_co_ci_u32_e32 v33, vcc_lo, s12, v15, vcc_lo
	v_and_or_b32 v1, 0x8000, v5, v1
	s_delay_alu instid0(VALU_DEP_4)
	v_and_b32_e32 v5, 0xffff, v7
	ds_load_2addr_b32 v[7:8], v107 offset0:112 offset1:212
	v_lshl_or_b32 v1, v1, 16, v5
	global_store_b32 v[14:15], v1, off
	scratch_load_b32 v15, off, off offset:64 ; 4-byte Folded Reload
	s_waitcnt lgkmcnt(0)
	v_lshrrev_b32_e32 v23, 16, v7
	v_mul_f16_e32 v1, v40, v7
	s_delay_alu instid0(VALU_DEP_1) | instskip(SKIP_1) | instid1(VALU_DEP_2)
	v_fma_f16 v1, v39, v23, -v1
	v_mul_f16_e32 v23, v40, v23
	v_cvt_f32_f16_e32 v1, v1
	s_delay_alu instid0(VALU_DEP_2) | instskip(NEXT) | instid1(VALU_DEP_2)
	v_fmac_f16_e32 v23, v39, v7
	v_cvt_f64_f32_e32 v[13:14], v1
	s_delay_alu instid0(VALU_DEP_2) | instskip(NEXT) | instid1(VALU_DEP_2)
	v_cvt_f32_f16_e32 v7, v23
	v_mul_f64 v[13:14], v[13:14], s[10:11]
	s_delay_alu instid0(VALU_DEP_1) | instskip(SKIP_3) | instid1(VALU_DEP_4)
	v_and_or_b32 v1, 0x1ff, v14, v13
	v_lshrrev_b32_e32 v5, 8, v14
	v_bfe_u32 v20, v14, 20, 11
	v_lshrrev_b32_e32 v14, 16, v14
	v_cmp_ne_u32_e32 vcc_lo, 0, v1
	v_cndmask_b32_e64 v1, 0, 1, vcc_lo
	s_delay_alu instid0(VALU_DEP_1) | instskip(SKIP_1) | instid1(VALU_DEP_2)
	v_and_or_b32 v1, 0xffe, v5, v1
	v_sub_nc_u32_e32 v5, 0x3f1, v20
	v_or_b32_e32 v13, 0x1000, v1
	s_delay_alu instid0(VALU_DEP_2) | instskip(NEXT) | instid1(VALU_DEP_1)
	v_med3_i32 v5, v5, 0, 13
	v_lshrrev_b32_e32 v22, v5, v13
	s_delay_alu instid0(VALU_DEP_1) | instskip(NEXT) | instid1(VALU_DEP_1)
	v_lshlrev_b32_e32 v5, v5, v22
	v_cmp_ne_u32_e32 vcc_lo, v5, v13
	scratch_load_b32 v13, off, off offset:68 ; 4-byte Folded Reload
	v_lshrrev_b32_e32 v5, 16, v12
	s_waitcnt vmcnt(0)
	s_delay_alu instid0(VALU_DEP_1) | instskip(SKIP_1) | instid1(VALU_DEP_2)
	v_mul_f16_e32 v35, v13, v5
	v_mul_f16_e32 v13, v13, v12
	v_fmac_f16_e32 v35, v15, v12
	s_delay_alu instid0(VALU_DEP_2) | instskip(SKIP_1) | instid1(VALU_DEP_1)
	v_fma_f16 v36, v15, v5, -v13
	v_cvt_f32_f16_e32 v5, v24
	v_cvt_f64_f32_e32 v[12:13], v5
	s_delay_alu instid0(VALU_DEP_1) | instskip(NEXT) | instid1(VALU_DEP_1)
	v_mul_f64 v[15:16], v[12:13], s[10:11]
	v_and_or_b32 v5, 0x1ff, v16, v15
	v_lshrrev_b32_e32 v12, 8, v16
	v_bfe_u32 v24, v16, 20, 11
	v_lshrrev_b32_e32 v16, 16, v16
	s_delay_alu instid0(VALU_DEP_4) | instskip(NEXT) | instid1(VALU_DEP_1)
	v_cmp_ne_u32_e64 s1, 0, v5
	v_cndmask_b32_e64 v5, 0, 1, s1
	s_delay_alu instid0(VALU_DEP_1) | instskip(SKIP_1) | instid1(VALU_DEP_2)
	v_and_or_b32 v15, 0xffe, v12, v5
	v_sub_nc_u32_e32 v5, 0x3f1, v24
	v_or_b32_e32 v12, 0x1000, v15
	s_delay_alu instid0(VALU_DEP_2) | instskip(NEXT) | instid1(VALU_DEP_1)
	v_med3_i32 v5, v5, 0, 13
	v_lshrrev_b32_e32 v25, v5, v12
	s_delay_alu instid0(VALU_DEP_1) | instskip(NEXT) | instid1(VALU_DEP_1)
	v_lshlrev_b32_e32 v5, v5, v25
	v_cmp_ne_u32_e64 s1, v5, v12
	v_mul_f16_e32 v5, v38, v29
	s_delay_alu instid0(VALU_DEP_1) | instskip(NEXT) | instid1(VALU_DEP_1)
	v_fmac_f16_e32 v5, v37, v9
	v_cvt_f32_f16_e32 v5, v5
	s_delay_alu instid0(VALU_DEP_1) | instskip(NEXT) | instid1(VALU_DEP_1)
	v_cvt_f64_f32_e32 v[12:13], v5
	v_mul_f64 v[12:13], v[12:13], s[10:11]
	s_delay_alu instid0(VALU_DEP_1) | instskip(SKIP_1) | instid1(VALU_DEP_2)
	v_and_or_b32 v5, 0x1ff, v13, v12
	v_lshrrev_b32_e32 v9, 8, v13
	v_cmp_ne_u32_e64 s3, 0, v5
	s_delay_alu instid0(VALU_DEP_1) | instskip(NEXT) | instid1(VALU_DEP_1)
	v_cndmask_b32_e64 v5, 0, 1, s3
	v_and_or_b32 v5, 0xffe, v9, v5
	v_bfe_u32 v9, v13, 20, 11
	s_delay_alu instid0(VALU_DEP_2) | instskip(NEXT) | instid1(VALU_DEP_2)
	v_or_b32_e32 v29, 0x1000, v5
	v_sub_nc_u32_e32 v12, 0x3f1, v9
	v_add_nc_u32_e32 v9, 0xfffffc10, v9
	s_delay_alu instid0(VALU_DEP_2) | instskip(NEXT) | instid1(VALU_DEP_1)
	v_med3_i32 v12, v12, 0, 13
	v_lshrrev_b32_e32 v37, v12, v29
	s_delay_alu instid0(VALU_DEP_1) | instskip(NEXT) | instid1(VALU_DEP_1)
	v_lshlrev_b32_e32 v12, v12, v37
	v_cmp_ne_u32_e64 s3, v12, v29
	v_lshl_or_b32 v29, v9, 12, v5
	s_delay_alu instid0(VALU_DEP_2) | instskip(SKIP_1) | instid1(VALU_DEP_2)
	v_cndmask_b32_e64 v12, 0, 1, s3
	v_cmp_gt_i32_e64 s3, 1, v9
	v_or_b32_e32 v12, v37, v12
	s_delay_alu instid0(VALU_DEP_1) | instskip(NEXT) | instid1(VALU_DEP_1)
	v_cndmask_b32_e64 v12, v29, v12, s3
	v_and_b32_e32 v29, 7, v12
	v_lshrrev_b32_e32 v12, 2, v12
	s_delay_alu instid0(VALU_DEP_2) | instskip(SKIP_4) | instid1(VALU_DEP_4)
	v_cmp_lt_i32_e64 s3, 5, v29
	v_cmp_eq_u32_e64 s4, 3, v29
	v_cndmask_b32_e64 v29, 0, 1, s0
	v_cmp_ne_u32_e64 s0, 0, v5
	v_add_nc_u32_e32 v5, 0xfffffc10, v26
	s_or_b32 s3, s4, s3
	s_delay_alu instid0(VALU_DEP_3) | instskip(SKIP_1) | instid1(VALU_DEP_3)
	v_or_b32_e32 v28, v28, v29
	v_add_co_ci_u32_e64 v12, s3, 0, v12, s3
	v_lshl_or_b32 v26, v5, 12, v18
	v_cmp_gt_i32_e64 s5, 1, v5
	v_cmp_gt_i32_e64 s3, 31, v9
	v_cmp_ne_u32_e64 s4, 0, v18
	s_delay_alu instid0(VALU_DEP_3) | instskip(SKIP_1) | instid1(VALU_DEP_4)
	v_cndmask_b32_e64 v26, v26, v28, s5
	v_cndmask_b32_e64 v28, 0, 1, s0
	;; [unrolled: 1-line block ×3, first 2 shown]
	v_cmp_eq_u32_e64 s0, 0x40f, v9
	v_cndmask_b32_e64 v18, 0, 1, s4
	s_delay_alu instid0(VALU_DEP_4) | instskip(NEXT) | instid1(VALU_DEP_2)
	v_lshl_or_b32 v28, v28, 9, 0x7c00
	v_lshl_or_b32 v18, v18, 9, 0x7c00
	s_delay_alu instid0(VALU_DEP_2) | instskip(SKIP_2) | instid1(VALU_DEP_2)
	v_cndmask_b32_e64 v9, v12, v28, s0
	v_lshrrev_b32_e32 v12, 16, v13
	v_and_b32_e32 v13, 7, v26
	v_and_or_b32 v9, 0x8000, v12, v9
	s_delay_alu instid0(VALU_DEP_2) | instskip(SKIP_2) | instid1(VALU_DEP_4)
	v_cmp_lt_i32_e64 s0, 5, v13
	v_cmp_eq_u32_e64 s3, 3, v13
	v_lshrrev_b32_e32 v13, 2, v26
	v_and_b32_e32 v9, 0xffff, v9
	s_delay_alu instid0(VALU_DEP_3)
	s_or_b32 s0, s3, s0
	s_delay_alu instid0(VALU_DEP_2) | instid1(SALU_CYCLE_1)
	v_add_co_ci_u32_e64 v13, s0, 0, v13, s0
	v_cmp_gt_i32_e64 s0, 31, v5
	s_delay_alu instid0(VALU_DEP_1) | instskip(SKIP_1) | instid1(VALU_DEP_1)
	v_cndmask_b32_e64 v13, 0x7c00, v13, s0
	v_cmp_eq_u32_e64 s0, 0x40f, v5
	v_cndmask_b32_e64 v5, v13, v18, s0
	v_lshrrev_b32_e32 v13, 16, v19
	v_cvt_f64_f32_e32 v[18:19], v3
	v_add_co_u32 v12, s0, v32, s13
	s_delay_alu instid0(VALU_DEP_3) | instskip(SKIP_1) | instid1(VALU_DEP_2)
	v_and_or_b32 v5, 0x8000, v13, v5
	v_add_co_ci_u32_e64 v13, s0, s12, v33, s0
	v_lshl_or_b32 v5, v5, 16, v9
	global_store_b32 v[32:33], v5, off
	v_mul_f64 v[18:19], v[18:19], s[10:11]
	s_delay_alu instid0(VALU_DEP_1) | instskip(SKIP_1) | instid1(VALU_DEP_2)
	v_and_or_b32 v3, 0x1ff, v19, v18
	v_lshrrev_b32_e32 v5, 8, v19
	v_cmp_ne_u32_e64 s0, 0, v3
	s_delay_alu instid0(VALU_DEP_1) | instskip(NEXT) | instid1(VALU_DEP_1)
	v_cndmask_b32_e64 v3, 0, 1, s0
	v_and_or_b32 v3, 0xffe, v5, v3
	v_bfe_u32 v5, v19, 20, 11
	s_delay_alu instid0(VALU_DEP_2) | instskip(NEXT) | instid1(VALU_DEP_2)
	v_or_b32_e32 v18, 0x1000, v3
	v_sub_nc_u32_e32 v9, 0x3f1, v5
	v_add_nc_u32_e32 v5, 0xfffffc10, v5
	v_cmp_ne_u32_e64 s3, 0, v3
	s_delay_alu instid0(VALU_DEP_3) | instskip(NEXT) | instid1(VALU_DEP_1)
	v_med3_i32 v9, v9, 0, 13
	v_lshrrev_b32_e32 v26, v9, v18
	s_delay_alu instid0(VALU_DEP_1) | instskip(NEXT) | instid1(VALU_DEP_1)
	v_lshlrev_b32_e32 v9, v9, v26
	v_cmp_ne_u32_e64 s0, v9, v18
	v_lshl_or_b32 v18, v5, 12, v3
	s_delay_alu instid0(VALU_DEP_2) | instskip(SKIP_1) | instid1(VALU_DEP_2)
	v_cndmask_b32_e64 v9, 0, 1, s0
	v_cmp_gt_i32_e64 s0, 1, v5
	v_or_b32_e32 v9, v26, v9
	v_add_nc_u32_e32 v26, 0xfffffc10, v30
	s_delay_alu instid0(VALU_DEP_2) | instskip(SKIP_1) | instid1(VALU_DEP_3)
	v_cndmask_b32_e64 v9, v18, v9, s0
	v_cndmask_b32_e64 v18, 0, 1, s2
	v_lshl_or_b32 v28, v26, 12, v27
	v_cmp_gt_i32_e64 s0, 1, v26
	s_delay_alu instid0(VALU_DEP_3) | instskip(NEXT) | instid1(VALU_DEP_1)
	v_or_b32_e32 v18, v31, v18
	v_cndmask_b32_e64 v18, v28, v18, s0
	v_and_b32_e32 v28, 7, v9
	s_delay_alu instid0(VALU_DEP_2) | instskip(NEXT) | instid1(VALU_DEP_2)
	v_and_b32_e32 v3, 7, v18
	v_cmp_lt_i32_e64 s0, 5, v28
	v_cmp_eq_u32_e64 s2, 3, v28
	s_delay_alu instid0(VALU_DEP_3) | instskip(SKIP_2) | instid1(VALU_DEP_4)
	v_cmp_lt_i32_e64 s4, 5, v3
	v_cmp_eq_u32_e64 s5, 3, v3
	v_lshrrev_b32_e32 v3, 2, v9
	s_or_b32 s0, s2, s0
	v_cndmask_b32_e64 v9, 0, 1, s3
	s_delay_alu instid0(VALU_DEP_3) | instskip(NEXT) | instid1(VALU_DEP_2)
	s_or_b32 s2, s5, s4
	v_add_co_ci_u32_e64 v3, s0, 0, v3, s0
	v_cmp_gt_i32_e64 s0, 31, v5
	s_delay_alu instid0(VALU_DEP_3) | instskip(NEXT) | instid1(VALU_DEP_2)
	v_lshl_or_b32 v9, v9, 9, 0x7c00
	v_cndmask_b32_e64 v3, 0x7c00, v3, s0
	v_cmp_eq_u32_e64 s0, 0x40f, v5
	v_lshrrev_b32_e32 v5, 16, v19
	s_delay_alu instid0(VALU_DEP_2) | instskip(SKIP_2) | instid1(VALU_DEP_3)
	v_cndmask_b32_e64 v3, v3, v9, s0
	v_lshrrev_b32_e32 v9, 2, v18
	v_cmp_ne_u32_e64 s0, 0, v27
	v_and_or_b32 v3, 0x8000, v5, v3
	s_delay_alu instid0(VALU_DEP_3) | instskip(SKIP_1) | instid1(VALU_DEP_4)
	v_add_co_ci_u32_e64 v9, s2, 0, v9, s2
	v_cmp_gt_i32_e64 s2, 31, v26
	v_cndmask_b32_e64 v18, 0, 1, s0
	v_cmp_eq_u32_e64 s0, 0x40f, v26
	v_and_b32_e32 v3, 0xffff, v3
	s_delay_alu instid0(VALU_DEP_4) | instskip(NEXT) | instid1(VALU_DEP_4)
	v_cndmask_b32_e64 v9, 0x7c00, v9, s2
	v_lshl_or_b32 v18, v18, 9, 0x7c00
	s_delay_alu instid0(VALU_DEP_1) | instskip(SKIP_2) | instid1(VALU_DEP_1)
	v_cndmask_b32_e64 v9, v9, v18, s0
	v_lshrrev_b32_e32 v18, 16, v21
	v_add_co_u32 v28, s0, v12, s13
	v_add_co_ci_u32_e64 v29, s0, s12, v13, s0
	s_delay_alu instid0(VALU_DEP_3) | instskip(NEXT) | instid1(VALU_DEP_1)
	v_and_or_b32 v5, 0x8000, v18, v9
	v_lshl_or_b32 v3, v5, 16, v3
	global_store_b32 v[12:13], v3, off
	v_cvt_f32_f16_e32 v3, v34
	s_delay_alu instid0(VALU_DEP_1) | instskip(NEXT) | instid1(VALU_DEP_1)
	v_cvt_f64_f32_e32 v[12:13], v3
	v_mul_f64 v[30:31], v[12:13], s[10:11]
	s_clause 0x1
	scratch_load_b32 v12, off, off offset:56
	scratch_load_b32 v13, off, off offset:48
	v_and_or_b32 v3, 0x1ff, v31, v30
	v_lshrrev_b32_e32 v5, 8, v31
	v_bfe_u32 v34, v31, 20, 11
	s_delay_alu instid0(VALU_DEP_3) | instskip(NEXT) | instid1(VALU_DEP_1)
	v_cmp_ne_u32_e64 s0, 0, v3
	v_cndmask_b32_e64 v3, 0, 1, s0
	s_delay_alu instid0(VALU_DEP_1) | instskip(NEXT) | instid1(VALU_DEP_4)
	v_and_or_b32 v30, 0xffe, v5, v3
	v_sub_nc_u32_e32 v3, 0x3f1, v34
	s_delay_alu instid0(VALU_DEP_2) | instskip(NEXT) | instid1(VALU_DEP_2)
	v_or_b32_e32 v5, 0x1000, v30
	v_med3_i32 v3, v3, 0, 13
	s_delay_alu instid0(VALU_DEP_1) | instskip(NEXT) | instid1(VALU_DEP_1)
	v_lshrrev_b32_e32 v37, v3, v5
	v_lshlrev_b32_e32 v3, v3, v37
	s_delay_alu instid0(VALU_DEP_1) | instskip(SKIP_3) | instid1(VALU_DEP_1)
	v_cmp_ne_u32_e64 s4, v3, v5
	scratch_load_b32 v5, off, off offset:60 ; 4-byte Folded Reload
	v_lshrrev_b32_e32 v3, 16, v6
	s_waitcnt vmcnt(0)
	v_mul_f16_e32 v9, v5, v3
	v_mul_f16_e32 v5, v5, v6
	s_delay_alu instid0(VALU_DEP_2) | instskip(NEXT) | instid1(VALU_DEP_2)
	v_fmac_f16_e32 v9, v12, v6
	v_fma_f16 v38, v12, v3, -v5
	v_cvt_f32_f16_e32 v3, v35
	s_delay_alu instid0(VALU_DEP_1) | instskip(NEXT) | instid1(VALU_DEP_1)
	v_cvt_f64_f32_e32 v[5:6], v3
	v_mul_f64 v[18:19], v[5:6], s[10:11]
	s_delay_alu instid0(VALU_DEP_1) | instskip(SKIP_2) | instid1(VALU_DEP_3)
	v_and_or_b32 v3, 0x1ff, v19, v18
	v_lshrrev_b32_e32 v5, 8, v19
	v_bfe_u32 v21, v19, 20, 11
	v_cmp_ne_u32_e64 s0, 0, v3
	s_delay_alu instid0(VALU_DEP_1) | instskip(NEXT) | instid1(VALU_DEP_1)
	v_cndmask_b32_e64 v3, 0, 1, s0
	v_and_or_b32 v3, 0xffe, v5, v3
	s_delay_alu instid0(VALU_DEP_4) | instskip(NEXT) | instid1(VALU_DEP_2)
	v_sub_nc_u32_e32 v5, 0x3f1, v21
	v_or_b32_e32 v6, 0x1000, v3
	s_delay_alu instid0(VALU_DEP_2) | instskip(NEXT) | instid1(VALU_DEP_1)
	v_med3_i32 v5, v5, 0, 13
	v_lshrrev_b32_e32 v26, v5, v6
	s_delay_alu instid0(VALU_DEP_1) | instskip(NEXT) | instid1(VALU_DEP_1)
	v_lshlrev_b32_e32 v5, v5, v26
	v_cmp_ne_u32_e64 s2, v5, v6
	v_cvt_f32_f16_e32 v5, v36
	s_delay_alu instid0(VALU_DEP_1) | instskip(NEXT) | instid1(VALU_DEP_1)
	v_cvt_f64_f32_e32 v[5:6], v5
	v_mul_f64 v[5:6], v[5:6], s[10:11]
	s_delay_alu instid0(VALU_DEP_1) | instskip(SKIP_2) | instid1(VALU_DEP_3)
	v_and_or_b32 v5, 0x1ff, v6, v5
	v_lshrrev_b32_e32 v12, 8, v6
	v_bfe_u32 v27, v6, 20, 11
	v_cmp_ne_u32_e64 s0, 0, v5
	s_delay_alu instid0(VALU_DEP_1) | instskip(NEXT) | instid1(VALU_DEP_1)
	v_cndmask_b32_e64 v5, 0, 1, s0
	v_and_or_b32 v18, 0xffe, v12, v5
	s_delay_alu instid0(VALU_DEP_4) | instskip(NEXT) | instid1(VALU_DEP_2)
	v_sub_nc_u32_e32 v5, 0x3f1, v27
	v_or_b32_e32 v12, 0x1000, v18
	s_delay_alu instid0(VALU_DEP_2) | instskip(NEXT) | instid1(VALU_DEP_1)
	v_med3_i32 v5, v5, 0, 13
	v_lshrrev_b32_e32 v35, v5, v12
	s_delay_alu instid0(VALU_DEP_1) | instskip(NEXT) | instid1(VALU_DEP_1)
	v_lshlrev_b32_e32 v5, v5, v35
	v_cmp_ne_u32_e64 s3, v5, v12
	scratch_load_b32 v12, off, off offset:52 ; 4-byte Folded Reload
	v_lshrrev_b32_e32 v5, 16, v17
	s_waitcnt vmcnt(0)
	s_delay_alu instid0(VALU_DEP_1) | instskip(SKIP_1) | instid1(VALU_DEP_2)
	v_mul_f16_e32 v36, v12, v5
	v_mul_f16_e32 v12, v12, v17
	v_fmac_f16_e32 v36, v13, v17
	s_delay_alu instid0(VALU_DEP_2) | instskip(SKIP_1) | instid1(VALU_DEP_1)
	v_fma_f16 v17, v13, v5, -v12
	v_cvt_f32_f16_e32 v5, v9
	v_cvt_f64_f32_e32 v[12:13], v5
	s_delay_alu instid0(VALU_DEP_1) | instskip(NEXT) | instid1(VALU_DEP_1)
	v_mul_f64 v[12:13], v[12:13], s[10:11]
	v_and_or_b32 v5, 0x1ff, v13, v12
	v_lshrrev_b32_e32 v9, 8, v13
	s_delay_alu instid0(VALU_DEP_2) | instskip(NEXT) | instid1(VALU_DEP_1)
	v_cmp_ne_u32_e64 s0, 0, v5
	v_cndmask_b32_e64 v5, 0, 1, s0
	s_delay_alu instid0(VALU_DEP_1) | instskip(SKIP_1) | instid1(VALU_DEP_2)
	v_and_or_b32 v5, 0xffe, v9, v5
	v_bfe_u32 v9, v13, 20, 11
	v_or_b32_e32 v33, 0x1000, v5
	s_delay_alu instid0(VALU_DEP_2) | instskip(SKIP_1) | instid1(VALU_DEP_2)
	v_sub_nc_u32_e32 v12, 0x3f1, v9
	v_add_nc_u32_e32 v9, 0xfffffc10, v9
	v_med3_i32 v32, v12, 0, 13
	s_delay_alu instid0(VALU_DEP_1) | instskip(NEXT) | instid1(VALU_DEP_1)
	v_lshrrev_b32_e32 v12, v32, v33
	v_lshlrev_b32_e32 v32, v32, v12
	s_delay_alu instid0(VALU_DEP_1) | instskip(SKIP_1) | instid1(VALU_DEP_1)
	v_cmp_ne_u32_e64 s0, v32, v33
	v_cvt_f64_f32_e32 v[32:33], v7
	v_mul_f64 v[32:33], v[32:33], s[10:11]
	s_delay_alu instid0(VALU_DEP_1) | instskip(SKIP_1) | instid1(VALU_DEP_2)
	v_and_or_b32 v7, 0x1ff, v33, v32
	v_lshrrev_b32_e32 v23, 8, v33
	v_cmp_ne_u32_e64 s5, 0, v7
	s_delay_alu instid0(VALU_DEP_1) | instskip(NEXT) | instid1(VALU_DEP_1)
	v_cndmask_b32_e64 v7, 0, 1, s5
	v_and_or_b32 v7, 0xffe, v23, v7
	v_bfe_u32 v23, v33, 20, 11
	s_delay_alu instid0(VALU_DEP_2) | instskip(NEXT) | instid1(VALU_DEP_2)
	v_or_b32_e32 v39, 0x1000, v7
	v_sub_nc_u32_e32 v32, 0x3f1, v23
	v_add_nc_u32_e32 v23, 0xfffffc10, v23
	s_delay_alu instid0(VALU_DEP_2) | instskip(NEXT) | instid1(VALU_DEP_1)
	v_med3_i32 v32, v32, 0, 13
	v_lshrrev_b32_e32 v40, v32, v39
	s_delay_alu instid0(VALU_DEP_1) | instskip(NEXT) | instid1(VALU_DEP_1)
	v_lshlrev_b32_e32 v32, v32, v40
	v_cmp_ne_u32_e64 s5, v32, v39
	v_lshl_or_b32 v39, v23, 12, v7
	s_delay_alu instid0(VALU_DEP_2) | instskip(SKIP_1) | instid1(VALU_DEP_2)
	v_cndmask_b32_e64 v32, 0, 1, s5
	v_cmp_gt_i32_e64 s5, 1, v23
	v_or_b32_e32 v32, v40, v32
	s_delay_alu instid0(VALU_DEP_1) | instskip(NEXT) | instid1(VALU_DEP_1)
	v_cndmask_b32_e64 v32, v39, v32, s5
	v_and_b32_e32 v39, 7, v32
	s_delay_alu instid0(VALU_DEP_1) | instskip(SKIP_4) | instid1(VALU_DEP_4)
	v_cmp_lt_i32_e64 s5, 5, v39
	v_cmp_eq_u32_e64 s6, 3, v39
	v_cndmask_b32_e64 v39, 0, 1, vcc_lo
	v_cmp_ne_u32_e32 vcc_lo, 0, v7
	v_add_nc_u32_e32 v7, 0xfffffc10, v20
	s_or_b32 s5, s6, s5
	s_delay_alu instid0(VALU_DEP_3) | instskip(SKIP_1) | instid1(VALU_DEP_3)
	v_or_b32_e32 v22, v22, v39
	v_cmp_ne_u32_e64 s6, 0, v1
	v_lshl_or_b32 v20, v7, 12, v1
	v_cmp_gt_i32_e64 s7, 1, v7
	v_lshrrev_b32_e32 v1, 16, v33
	s_delay_alu instid0(VALU_DEP_2) | instskip(SKIP_3) | instid1(VALU_DEP_3)
	v_cndmask_b32_e64 v20, v20, v22, s7
	v_lshrrev_b32_e32 v22, 2, v32
	v_cndmask_b32_e64 v32, 0, 1, vcc_lo
	v_cmp_eq_u32_e32 vcc_lo, 0x40f, v23
	v_add_co_ci_u32_e64 v22, s5, 0, v22, s5
	v_cmp_gt_i32_e64 s5, 31, v23
	s_delay_alu instid0(VALU_DEP_4) | instskip(SKIP_2) | instid1(VALU_DEP_4)
	v_lshl_or_b32 v32, v32, 9, 0x7c00
	v_and_b32_e32 v23, 7, v20
	v_lshrrev_b32_e32 v20, 2, v20
	v_cndmask_b32_e64 v22, 0x7c00, v22, s5
	s_delay_alu instid0(VALU_DEP_3) | instskip(NEXT) | instid1(VALU_DEP_2)
	v_cmp_eq_u32_e64 s5, 3, v23
	v_cndmask_b32_e32 v22, v22, v32, vcc_lo
	v_cmp_lt_i32_e32 vcc_lo, 5, v23
	v_cndmask_b32_e64 v23, 0, 1, s6
	s_delay_alu instid0(VALU_DEP_3) | instskip(SKIP_1) | instid1(VALU_DEP_2)
	v_and_or_b32 v1, 0x8000, v1, v22
	s_or_b32 vcc_lo, s5, vcc_lo
	v_lshl_or_b32 v23, v23, 9, 0x7c00
	v_add_co_ci_u32_e32 v20, vcc_lo, 0, v20, vcc_lo
	v_cmp_gt_i32_e32 vcc_lo, 31, v7
	v_and_b32_e32 v1, 0xffff, v1
	s_delay_alu instid0(VALU_DEP_3) | instskip(SKIP_1) | instid1(VALU_DEP_2)
	v_cndmask_b32_e32 v20, 0x7c00, v20, vcc_lo
	v_cmp_eq_u32_e32 vcc_lo, 0x40f, v7
	v_dual_cndmask_b32 v7, v20, v23 :: v_dual_add_nc_u32 v20, 0xfffffc10, v24
	scratch_load_b32 v24, off, off offset:44 ; 4-byte Folded Reload
	v_and_or_b32 v7, 0x8000, v14, v7
	v_cndmask_b32_e64 v14, 0, 1, s1
	v_lshl_or_b32 v22, v20, 12, v15
	v_cmp_gt_i32_e32 vcc_lo, 1, v20
	s_delay_alu instid0(VALU_DEP_4) | instskip(NEXT) | instid1(VALU_DEP_4)
	v_lshl_or_b32 v1, v7, 16, v1
	v_or_b32_e32 v14, v25, v14
	scratch_load_b32 v25, off, off offset:40 ; 4-byte Folded Reload
	global_store_b32 v[28:29], v1, off
	v_cndmask_b32_e32 v14, v22, v14, vcc_lo
	s_delay_alu instid0(VALU_DEP_1) | instskip(SKIP_1) | instid1(VALU_DEP_2)
	v_and_b32_e32 v7, 7, v14
	v_lshrrev_b32_e32 v14, 2, v14
	v_cmp_lt_i32_e32 vcc_lo, 5, v7
	v_cmp_eq_u32_e64 s1, 3, v7
	v_cndmask_b32_e64 v7, 0, 1, s4
	v_cmp_ne_u32_e64 s4, 0, v15
	v_add_nc_u32_e32 v15, 0xfffffc10, v34
	s_delay_alu instid0(VALU_DEP_4) | instskip(NEXT) | instid1(VALU_DEP_3)
	s_or_b32 vcc_lo, s1, vcc_lo
	v_or_b32_e32 v7, v37, v7
	v_add_co_ci_u32_e32 v14, vcc_lo, 0, v14, vcc_lo
	s_delay_alu instid0(VALU_DEP_3) | instskip(SKIP_2) | instid1(VALU_DEP_2)
	v_lshl_or_b32 v22, v15, 12, v30
	v_cmp_gt_i32_e64 s5, 1, v15
	v_cmp_gt_i32_e32 vcc_lo, 31, v20
	v_cndmask_b32_e64 v7, v22, v7, s5
	v_cndmask_b32_e64 v22, 0, 1, s4
	v_cndmask_b32_e32 v14, 0x7c00, v14, vcc_lo
	v_cmp_eq_u32_e32 vcc_lo, 0x40f, v20
	v_cmp_ne_u32_e64 s4, 0, v30
	v_and_b32_e32 v20, 7, v7
	v_lshl_or_b32 v22, v22, 9, 0x7c00
	v_lshrrev_b32_e32 v7, 2, v7
	s_delay_alu instid0(VALU_DEP_3) | instskip(NEXT) | instid1(VALU_DEP_3)
	v_cmp_eq_u32_e64 s1, 3, v20
	v_cndmask_b32_e32 v14, v14, v22, vcc_lo
	v_cmp_lt_i32_e32 vcc_lo, 5, v20
	v_cndmask_b32_e64 v20, 0, 1, s4
	s_delay_alu instid0(VALU_DEP_3) | instskip(SKIP_1) | instid1(VALU_DEP_2)
	v_and_or_b32 v14, 0x8000, v16, v14
	s_or_b32 vcc_lo, s1, vcc_lo
	v_lshl_or_b32 v20, v20, 9, 0x7c00
	v_add_co_ci_u32_e32 v7, vcc_lo, 0, v7, vcc_lo
	v_cmp_gt_i32_e32 vcc_lo, 31, v15
	s_delay_alu instid0(VALU_DEP_2) | instskip(SKIP_2) | instid1(VALU_DEP_3)
	v_cndmask_b32_e32 v7, 0x7c00, v7, vcc_lo
	v_cmp_eq_u32_e32 vcc_lo, 0x40f, v15
	v_lshrrev_b32_e32 v15, 16, v31
	v_cndmask_b32_e32 v7, v7, v20, vcc_lo
	s_delay_alu instid0(VALU_DEP_1)
	v_and_or_b32 v1, 0x8000, v15, v7
	v_and_b32_e32 v7, 0xffff, v14
	v_mad_u64_u32 v[14:15], null, 0xffffd760, s8, v[28:29]
	scratch_load_b32 v29, off, off offset:12 ; 4-byte Folded Reload
	v_lshl_or_b32 v1, v1, 16, v7
	v_add_nc_u32_e32 v15, s9, v15
	global_store_b32 v[14:15], v1, off
	v_cvt_f32_f16_e32 v1, v38
	v_add_co_u32 v14, vcc_lo, v14, s13
	v_add_co_ci_u32_e32 v15, vcc_lo, s12, v15, vcc_lo
	s_delay_alu instid0(VALU_DEP_3) | instskip(NEXT) | instid1(VALU_DEP_1)
	v_cvt_f64_f32_e32 v[22:23], v1
	v_mul_f64 v[22:23], v[22:23], s[10:11]
	s_delay_alu instid0(VALU_DEP_1) | instskip(SKIP_3) | instid1(VALU_DEP_4)
	v_and_or_b32 v1, 0x1ff, v23, v22
	v_lshrrev_b32_e32 v7, 8, v23
	v_bfe_u32 v16, v23, 20, 11
	v_lshrrev_b32_e32 v23, 16, v23
	v_cmp_ne_u32_e32 vcc_lo, 0, v1
	v_cndmask_b32_e64 v1, 0, 1, vcc_lo
	s_delay_alu instid0(VALU_DEP_1) | instskip(SKIP_1) | instid1(VALU_DEP_2)
	v_and_or_b32 v1, 0xffe, v7, v1
	v_sub_nc_u32_e32 v7, 0x3f1, v16
	v_or_b32_e32 v20, 0x1000, v1
	s_delay_alu instid0(VALU_DEP_2) | instskip(NEXT) | instid1(VALU_DEP_1)
	v_med3_i32 v7, v7, 0, 13
	v_lshrrev_b32_e32 v22, v7, v20
	s_delay_alu instid0(VALU_DEP_1) | instskip(NEXT) | instid1(VALU_DEP_1)
	v_lshlrev_b32_e32 v7, v7, v22
	v_cmp_ne_u32_e32 vcc_lo, v7, v20
	v_lshrrev_b32_e32 v7, 16, v4
	s_waitcnt vmcnt(2)
	s_delay_alu instid0(VALU_DEP_1) | instskip(SKIP_2) | instid1(VALU_DEP_2)
	v_mul_f16_e32 v20, v24, v7
	v_mul_f16_e32 v24, v24, v4
	s_waitcnt vmcnt(1)
	v_fmac_f16_e32 v20, v25, v4
	v_cvt_f32_f16_e32 v4, v36
	s_delay_alu instid0(VALU_DEP_3) | instskip(NEXT) | instid1(VALU_DEP_2)
	v_fma_f16 v28, v25, v7, -v24
	v_cvt_f64_f32_e32 v[24:25], v4
	s_delay_alu instid0(VALU_DEP_1) | instskip(NEXT) | instid1(VALU_DEP_1)
	v_mul_f64 v[24:25], v[24:25], s[10:11]
	v_and_or_b32 v4, 0x1ff, v25, v24
	v_lshrrev_b32_e32 v7, 8, v25
	s_delay_alu instid0(VALU_DEP_2) | instskip(NEXT) | instid1(VALU_DEP_1)
	v_cmp_ne_u32_e64 s1, 0, v4
	v_cndmask_b32_e64 v4, 0, 1, s1
	s_delay_alu instid0(VALU_DEP_1) | instskip(SKIP_2) | instid1(VALU_DEP_2)
	v_and_or_b32 v24, 0xffe, v7, v4
	v_cndmask_b32_e64 v4, 0, 1, s2
	v_add_nc_u32_e32 v7, 0xfffffc10, v21
	v_or_b32_e32 v4, v26, v4
	s_delay_alu instid0(VALU_DEP_2) | instskip(SKIP_2) | instid1(VALU_DEP_2)
	v_lshl_or_b32 v21, v7, 12, v3
	v_cmp_gt_i32_e64 s1, 1, v7
	v_add_nc_u32_e32 v26, 0xfffffc10, v27
	v_cndmask_b32_e64 v4, v21, v4, s1
	v_cndmask_b32_e64 v21, 0, 1, s3
	s_delay_alu instid0(VALU_DEP_3) | instskip(SKIP_2) | instid1(VALU_DEP_4)
	v_lshl_or_b32 v27, v26, 12, v18
	v_cmp_gt_i32_e64 s1, 1, v26
	v_cmp_ne_u32_e64 s3, 0, v3
	v_or_b32_e32 v21, v35, v21
	s_delay_alu instid0(VALU_DEP_1) | instskip(SKIP_1) | instid1(VALU_DEP_2)
	v_cndmask_b32_e64 v21, v27, v21, s1
	v_and_b32_e32 v27, 7, v4
	v_and_b32_e32 v3, 7, v21
	s_delay_alu instid0(VALU_DEP_2) | instskip(SKIP_2) | instid1(VALU_DEP_4)
	v_cmp_lt_i32_e64 s1, 5, v27
	v_cmp_eq_u32_e64 s2, 3, v27
	v_lshrrev_b32_e32 v27, 16, v19
	v_cmp_lt_i32_e64 s4, 5, v3
	v_cmp_eq_u32_e64 s5, 3, v3
	v_lshrrev_b32_e32 v3, 2, v4
	s_or_b32 s1, s2, s1
	v_cndmask_b32_e64 v4, 0, 1, s3
	s_delay_alu instid0(VALU_DEP_3) | instskip(NEXT) | instid1(VALU_DEP_2)
	s_or_b32 s2, s5, s4
	v_add_co_ci_u32_e64 v3, s1, 0, v3, s1
	v_cmp_gt_i32_e64 s1, 31, v7
	s_delay_alu instid0(VALU_DEP_3) | instskip(NEXT) | instid1(VALU_DEP_2)
	v_lshl_or_b32 v4, v4, 9, 0x7c00
	v_cndmask_b32_e64 v3, 0x7c00, v3, s1
	v_cmp_eq_u32_e64 s1, 0x40f, v7
	s_delay_alu instid0(VALU_DEP_1)
	v_cndmask_b32_e64 v7, v3, v4, s1
	v_lshrrev_b32_e32 v3, 2, v21
	v_cmp_ne_u32_e64 s1, 0, v18
	v_cvt_f32_f16_e32 v18, v20
	v_bfe_u32 v21, v25, 20, 11
	v_lshrrev_b32_e32 v25, 16, v25
	v_add_co_ci_u32_e64 v3, s2, 0, v3, s2
	v_cmp_gt_i32_e64 s2, 31, v26
	v_cndmask_b32_e64 v4, 0, 1, s1
	v_cmp_eq_u32_e64 s1, 0x40f, v26
	s_delay_alu instid0(VALU_DEP_3) | instskip(NEXT) | instid1(VALU_DEP_3)
	v_cndmask_b32_e64 v3, 0x7c00, v3, s2
	v_lshl_or_b32 v4, v4, 9, 0x7c00
	s_delay_alu instid0(VALU_DEP_1) | instskip(SKIP_1) | instid1(VALU_DEP_1)
	v_cndmask_b32_e64 v20, v3, v4, s1
	v_cvt_f64_f32_e32 v[3:4], v18
	v_mul_f64 v[18:19], v[3:4], s[10:11]
	v_lshrrev_b32_e32 v3, 16, v6
	v_sub_nc_u32_e32 v6, 0x3f1, v21
	v_and_or_b32 v4, 0x8000, v27, v7
	v_or_b32_e32 v7, 0x1000, v24
	scratch_load_b32 v27, off, off offset:32 ; 4-byte Folded Reload
	v_and_or_b32 v3, 0x8000, v3, v20
	v_med3_i32 v6, v6, 0, 13
	v_and_b32_e32 v4, 0xffff, v4
	v_add_nc_u32_e32 v21, 0xfffffc10, v21
	s_delay_alu instid0(VALU_DEP_3) | instskip(NEXT) | instid1(VALU_DEP_3)
	v_lshrrev_b32_e32 v20, v6, v7
	v_lshl_or_b32 v3, v3, 16, v4
	s_delay_alu instid0(VALU_DEP_2)
	v_lshlrev_b32_e32 v4, v6, v20
	global_store_b32 v[14:15], v3, off
	v_add_co_u32 v3, s2, v14, s13
	v_lshrrev_b32_e32 v6, 16, v11
	v_cmp_ne_u32_e64 s1, v4, v7
	v_add_co_ci_u32_e64 v4, s2, s12, v15, s2
	scratch_load_b32 v15, off, off offset:36 ; 4-byte Folded Reload
	v_and_or_b32 v7, 0x1ff, v19, v18
	v_bfe_u32 v18, v19, 20, 11
	s_delay_alu instid0(VALU_DEP_2) | instskip(NEXT) | instid1(VALU_DEP_1)
	v_cmp_ne_u32_e64 s2, 0, v7
	v_cndmask_b32_e64 v7, 0, 1, s2
	s_waitcnt vmcnt(0)
	v_mul_f16_e32 v14, v15, v6
	v_mul_f16_e32 v15, v15, v11
	s_delay_alu instid0(VALU_DEP_2) | instskip(SKIP_1) | instid1(VALU_DEP_3)
	v_fmac_f16_e32 v14, v27, v11
	v_lshrrev_b32_e32 v11, 8, v19
	v_fma_f16 v15, v27, v6, -v15
	s_delay_alu instid0(VALU_DEP_3) | instskip(NEXT) | instid1(VALU_DEP_3)
	v_cvt_f32_f16_e32 v14, v14
	v_and_or_b32 v26, 0xffe, v11, v7
	v_sub_nc_u32_e32 v7, 0x3f1, v18
	v_cvt_f32_f16_e32 v11, v17
	v_add_nc_u32_e32 v18, 0xfffffc10, v18
	s_delay_alu instid0(VALU_DEP_3) | instskip(SKIP_1) | instid1(VALU_DEP_1)
	v_med3_i32 v6, v7, 0, 13
	v_or_b32_e32 v7, 0x1000, v26
	v_lshrrev_b32_e32 v27, v6, v7
	s_delay_alu instid0(VALU_DEP_1) | instskip(NEXT) | instid1(VALU_DEP_1)
	v_lshlrev_b32_e32 v6, v6, v27
	v_cmp_ne_u32_e64 s2, v6, v7
	v_cvt_f64_f32_e32 v[6:7], v11
	s_delay_alu instid0(VALU_DEP_1) | instskip(NEXT) | instid1(VALU_DEP_1)
	v_mul_f64 v[6:7], v[6:7], s[10:11]
	v_and_or_b32 v6, 0x1ff, v7, v6
	v_lshrrev_b32_e32 v11, 8, v7
	s_delay_alu instid0(VALU_DEP_2) | instskip(NEXT) | instid1(VALU_DEP_1)
	v_cmp_ne_u32_e64 s3, 0, v6
	v_cndmask_b32_e64 v6, 0, 1, s3
	s_delay_alu instid0(VALU_DEP_1) | instskip(SKIP_3) | instid1(VALU_DEP_3)
	v_and_or_b32 v17, 0xffe, v11, v6
	v_cndmask_b32_e64 v6, 0, 1, s0
	v_lshl_or_b32 v11, v9, 12, v5
	v_cmp_gt_i32_e64 s0, 1, v9
	v_or_b32_e32 v6, v12, v6
	s_delay_alu instid0(VALU_DEP_1) | instskip(SKIP_1) | instid1(VALU_DEP_1)
	v_cndmask_b32_e64 v6, v11, v6, s0
	v_cvt_f32_f16_e32 v11, v28
	v_cvt_f64_f32_e32 v[11:12], v11
	s_delay_alu instid0(VALU_DEP_1) | instskip(NEXT) | instid1(VALU_DEP_1)
	v_mul_f64 v[11:12], v[11:12], s[10:11]
	v_and_or_b32 v11, 0x1ff, v12, v11
	v_lshrrev_b32_e32 v28, 8, v12
	s_delay_alu instid0(VALU_DEP_2) | instskip(NEXT) | instid1(VALU_DEP_1)
	v_cmp_ne_u32_e64 s0, 0, v11
	v_cndmask_b32_e64 v11, 0, 1, s0
	s_delay_alu instid0(VALU_DEP_1) | instskip(SKIP_2) | instid1(VALU_DEP_2)
	v_and_or_b32 v11, 0xffe, v28, v11
	v_and_b32_e32 v28, 7, v6
	v_lshrrev_b32_e32 v6, 2, v6
	v_cmp_lt_i32_e64 s0, 5, v28
	v_cmp_eq_u32_e64 s3, 3, v28
	v_cndmask_b32_e64 v28, 0, 1, vcc_lo
	v_cmp_ne_u32_e32 vcc_lo, 0, v5
	v_add_nc_u32_e32 v5, 0xfffffc10, v16
	s_delay_alu instid0(VALU_DEP_4) | instskip(NEXT) | instid1(VALU_DEP_3)
	s_or_b32 s0, s3, s0
	v_or_b32_e32 v22, v22, v28
	v_add_co_ci_u32_e64 v6, s0, 0, v6, s0
	s_delay_alu instid0(VALU_DEP_3) | instskip(SKIP_2) | instid1(VALU_DEP_2)
	v_lshl_or_b32 v16, v5, 12, v1
	v_cmp_gt_i32_e64 s4, 1, v5
	v_cmp_gt_i32_e64 s0, 31, v9
	v_cndmask_b32_e64 v16, v16, v22, s4
	v_cndmask_b32_e64 v22, 0, 1, vcc_lo
	s_delay_alu instid0(VALU_DEP_3)
	v_cndmask_b32_e64 v6, 0x7c00, v6, s0
	v_cmp_eq_u32_e32 vcc_lo, 0x40f, v9
	v_lshrrev_b32_e32 v9, 16, v13
	v_and_b32_e32 v13, 7, v16
	v_lshl_or_b32 v22, v22, 9, 0x7c00
	v_lshrrev_b32_e32 v16, 2, v16
	s_delay_alu instid0(VALU_DEP_3) | instskip(NEXT) | instid1(VALU_DEP_3)
	v_cmp_eq_u32_e64 s0, 3, v13
	v_cndmask_b32_e32 v6, v6, v22, vcc_lo
	v_cmp_lt_i32_e32 vcc_lo, 5, v13
	v_bfe_u32 v13, v7, 20, 11
	v_or_b32_e32 v22, 0x1000, v17
	v_lshrrev_b32_e32 v7, 16, v7
	v_and_or_b32 v9, 0x8000, v9, v6
	s_or_b32 vcc_lo, s0, vcc_lo
	v_sub_nc_u32_e32 v6, 0x3f1, v13
	v_add_co_ci_u32_e32 v16, vcc_lo, 0, v16, vcc_lo
	v_cmp_ne_u32_e32 vcc_lo, 0, v1
	v_and_b32_e32 v9, 0xffff, v9
	s_delay_alu instid0(VALU_DEP_4) | instskip(SKIP_2) | instid1(VALU_DEP_2)
	v_med3_i32 v6, v6, 0, 13
	v_cndmask_b32_e64 v1, 0, 1, vcc_lo
	v_cmp_gt_i32_e32 vcc_lo, 31, v5
	v_lshl_or_b32 v1, v1, 9, 0x7c00
	v_cndmask_b32_e32 v16, 0x7c00, v16, vcc_lo
	v_cmp_eq_u32_e32 vcc_lo, 0x40f, v5
	v_cndmask_b32_e64 v5, 0, 1, s1
	s_delay_alu instid0(VALU_DEP_3) | instskip(SKIP_1) | instid1(VALU_DEP_3)
	v_cndmask_b32_e32 v1, v16, v1, vcc_lo
	v_lshrrev_b32_e32 v16, v6, v22
	v_or_b32_e32 v20, v20, v5
	s_delay_alu instid0(VALU_DEP_3) | instskip(NEXT) | instid1(VALU_DEP_3)
	v_and_or_b32 v1, 0x8000, v23, v1
	v_lshlrev_b32_e32 v28, v6, v16
	v_cvt_f64_f32_e32 v[5:6], v14
	v_bfe_u32 v23, v12, 20, 11
	s_delay_alu instid0(VALU_DEP_4) | instskip(NEXT) | instid1(VALU_DEP_4)
	v_lshl_or_b32 v1, v1, 16, v9
	v_cmp_ne_u32_e32 vcc_lo, v28, v22
	v_add_nc_u32_e32 v22, 0xfffffc10, v13
	v_lshl_or_b32 v13, v21, 12, v24
	v_or_b32_e32 v28, 0x1000, v11
	global_store_b32 v[3:4], v1, off
	v_cndmask_b32_e64 v14, 0, 1, vcc_lo
	v_cmp_gt_i32_e32 vcc_lo, 1, v21
	s_delay_alu instid0(VALU_DEP_2) | instskip(SKIP_4) | instid1(VALU_DEP_4)
	v_or_b32_e32 v14, v16, v14
	v_lshl_or_b32 v16, v22, 12, v17
	v_cndmask_b32_e32 v13, v13, v20, vcc_lo
	v_cmp_gt_i32_e32 vcc_lo, 1, v22
	v_sub_nc_u32_e32 v20, 0x3f1, v23
	v_cndmask_b32_e32 v16, v16, v14, vcc_lo
	s_delay_alu instid0(VALU_DEP_4) | instskip(SKIP_1) | instid1(VALU_DEP_4)
	v_and_b32_e32 v14, 7, v13
	v_lshrrev_b32_e32 v13, 2, v13
	v_med3_i32 v20, v20, 0, 13
	s_delay_alu instid0(VALU_DEP_4) | instskip(NEXT) | instid1(VALU_DEP_4)
	v_and_b32_e32 v9, 7, v16
	v_cmp_lt_i32_e32 vcc_lo, 5, v14
	v_cmp_eq_u32_e64 s0, 3, v14
	v_cvt_f32_f16_e32 v14, v15
	s_delay_alu instid0(VALU_DEP_4) | instskip(SKIP_1) | instid1(VALU_DEP_4)
	v_cmp_lt_i32_e64 s1, 5, v9
	v_cmp_eq_u32_e64 s3, 3, v9
	s_or_b32 vcc_lo, s0, vcc_lo
	v_add_co_ci_u32_e32 v9, vcc_lo, 0, v13, vcc_lo
	v_cmp_ne_u32_e32 vcc_lo, 0, v24
	v_lshrrev_b32_e32 v24, v20, v28
	v_mul_f64 v[5:6], v[5:6], s[10:11]
	v_cndmask_b32_e64 v13, 0, 1, vcc_lo
	v_cmp_gt_i32_e32 vcc_lo, 31, v21
	s_delay_alu instid0(VALU_DEP_4) | instskip(NEXT) | instid1(VALU_DEP_3)
	v_lshlrev_b32_e32 v20, v20, v24
	v_lshl_or_b32 v15, v13, 9, 0x7c00
	v_cndmask_b32_e32 v9, 0x7c00, v9, vcc_lo
	v_cmp_eq_u32_e32 vcc_lo, 0x40f, v21
	v_lshl_or_b32 v21, v18, 12, v26
	v_cvt_f64_f32_e32 v[13:14], v14
	s_delay_alu instid0(VALU_DEP_4) | instskip(SKIP_3) | instid1(VALU_DEP_3)
	v_cndmask_b32_e32 v9, v9, v15, vcc_lo
	v_lshrrev_b32_e32 v15, 2, v16
	s_or_b32 vcc_lo, s3, s1
	v_cndmask_b32_e64 v16, 0, 1, s2
	v_and_or_b32 v9, 0x8000, v25, v9
	s_delay_alu instid0(VALU_DEP_3) | instskip(SKIP_1) | instid1(VALU_DEP_4)
	v_add_co_ci_u32_e32 v15, vcc_lo, 0, v15, vcc_lo
	v_cmp_ne_u32_e32 vcc_lo, 0, v17
	v_or_b32_e32 v16, v27, v16
	scratch_load_b32 v27, off, off offset:24 ; 4-byte Folded Reload
	v_and_b32_e32 v9, 0xffff, v9
	v_cndmask_b32_e64 v17, 0, 1, vcc_lo
	v_cmp_gt_i32_e32 vcc_lo, 31, v22
	s_delay_alu instid0(VALU_DEP_2)
	v_lshl_or_b32 v17, v17, 9, 0x7c00
	v_cndmask_b32_e32 v15, 0x7c00, v15, vcc_lo
	v_cmp_gt_i32_e32 vcc_lo, 1, v18
	v_and_or_b32 v1, 0x1ff, v6, v5
	v_cndmask_b32_e32 v16, v21, v16, vcc_lo
	v_cmp_eq_u32_e32 vcc_lo, 0x40f, v22
	s_delay_alu instid0(VALU_DEP_3) | instskip(NEXT) | instid1(VALU_DEP_3)
	v_cmp_ne_u32_e64 s1, 0, v1
	v_and_b32_e32 v21, 7, v16
	v_cndmask_b32_e32 v15, v15, v17, vcc_lo
	v_cmp_ne_u32_e32 vcc_lo, v20, v28
	v_add_nc_u32_e32 v20, 0xfffffc10, v23
	v_lshrrev_b32_e32 v16, 2, v16
	v_mul_f64 v[13:14], v[13:14], s[10:11]
	v_and_or_b32 v7, 0x8000, v7, v15
	v_cndmask_b32_e64 v17, 0, 1, vcc_lo
	v_lshl_or_b32 v22, v20, 12, v11
	v_cmp_gt_i32_e64 s0, 1, v20
	v_cmp_lt_i32_e32 vcc_lo, 5, v21
	v_cndmask_b32_e64 v1, 0, 1, s1
	v_or_b32_e32 v17, v24, v17
	scratch_load_b32 v24, off, off offset:28 ; 4-byte Folded Reload
	v_lshl_or_b32 v7, v7, 16, v9
	scratch_load_b32 v28, off, off offset:8 ; 4-byte Folded Reload
	v_cndmask_b32_e64 v15, v22, v17, s0
	v_lshrrev_b32_e32 v17, 16, v0
	v_cmp_eq_u32_e64 s0, 3, v21
	v_bfe_u32 v22, v6, 20, 11
	s_delay_alu instid0(VALU_DEP_4) | instskip(SKIP_1) | instid1(VALU_DEP_4)
	v_and_b32_e32 v5, 7, v15
	v_lshrrev_b32_e32 v15, 2, v15
	s_or_b32 vcc_lo, s0, vcc_lo
	s_delay_alu instid0(VALU_DEP_3)
	v_sub_nc_u32_e32 v25, 0x3f1, v22
	v_add_co_ci_u32_e32 v16, vcc_lo, 0, v16, vcc_lo
	v_cmp_lt_i32_e64 s1, 5, v5
	v_cmp_eq_u32_e64 s2, 3, v5
	v_lshrrev_b32_e32 v5, 8, v6
	v_cmp_ne_u32_e32 vcc_lo, 0, v26
	v_med3_i32 v25, v25, 0, 13
	v_add_nc_u32_e32 v22, 0xfffffc10, v22
	s_delay_alu instid0(VALU_DEP_4) | instskip(SKIP_2) | instid1(VALU_DEP_2)
	v_and_or_b32 v5, 0xffe, v5, v1
	v_cndmask_b32_e64 v1, 0, 1, vcc_lo
	v_cmp_gt_i32_e32 vcc_lo, 31, v18
	v_lshl_or_b32 v23, v1, 9, 0x7c00
	v_cndmask_b32_e32 v16, 0x7c00, v16, vcc_lo
	v_cmp_eq_u32_e32 vcc_lo, 0x40f, v18
	v_and_or_b32 v13, 0x1ff, v14, v13
	v_bfe_u32 v26, v14, 20, 11
	s_delay_alu instid0(VALU_DEP_4)
	v_cndmask_b32_e32 v18, v16, v23, vcc_lo
	s_or_b32 vcc_lo, s2, s1
	v_add_co_ci_u32_e32 v15, vcc_lo, 0, v15, vcc_lo
	v_cmp_ne_u32_e32 vcc_lo, 0, v11
	v_cndmask_b32_e64 v11, 0, 1, vcc_lo
	v_cmp_gt_i32_e32 vcc_lo, 31, v20
	s_delay_alu instid0(VALU_DEP_2) | instskip(SKIP_3) | instid1(VALU_DEP_2)
	v_lshl_or_b32 v11, v11, 9, 0x7c00
	s_waitcnt vmcnt(1)
	v_mul_f16_e32 v21, v24, v17
	v_mul_f16_e32 v24, v24, v0
	v_fmac_f16_e32 v21, v27, v0
	s_delay_alu instid0(VALU_DEP_2)
	v_fma_f16 v16, v27, v17, -v24
	v_lshrrev_b32_e32 v17, 16, v19
	v_cndmask_b32_e32 v19, 0x7c00, v15, vcc_lo
	v_cmp_ne_u32_e32 vcc_lo, 0, v13
	v_cvt_f32_f16_e32 v21, v21
	scratch_load_b32 v27, off, off offset:20 ; 4-byte Folded Reload
	v_cvt_f32_f16_e32 v15, v16
	v_cndmask_b32_e64 v13, 0, 1, vcc_lo
	v_cvt_f64_f32_e32 v[0:1], v21
	v_or_b32_e32 v21, 0x1000, v5
	s_delay_alu instid0(VALU_DEP_4) | instskip(NEXT) | instid1(VALU_DEP_2)
	v_cvt_f64_f32_e32 v[15:16], v15
	v_lshrrev_b32_e32 v23, v25, v21
	s_delay_alu instid0(VALU_DEP_1) | instskip(SKIP_2) | instid1(VALU_DEP_3)
	v_lshlrev_b32_e32 v24, v25, v23
	v_lshrrev_b32_e32 v25, 8, v14
	v_lshrrev_b32_e32 v14, 16, v14
	v_cmp_ne_u32_e32 vcc_lo, v24, v21
	s_delay_alu instid0(VALU_DEP_3) | instskip(SKIP_4) | instid1(VALU_DEP_4)
	v_and_or_b32 v13, 0xffe, v25, v13
	v_sub_nc_u32_e32 v24, 0x3f1, v26
	v_lshrrev_b32_e32 v25, 16, v12
	v_cndmask_b32_e64 v21, 0, 1, vcc_lo
	v_cmp_eq_u32_e32 vcc_lo, 0x40f, v20
	v_med3_i32 v24, v24, 0, 13
	s_delay_alu instid0(VALU_DEP_3) | instskip(SKIP_4) | instid1(VALU_DEP_4)
	v_or_b32_e32 v20, v23, v21
	v_cndmask_b32_e32 v19, v19, v11, vcc_lo
	v_lshl_or_b32 v21, v22, 12, v5
	v_cmp_gt_i32_e32 vcc_lo, 1, v22
	v_or_b32_e32 v23, 0x1000, v13
	v_and_or_b32 v9, 0x8000, v25, v19
	v_mul_f64 v[11:12], v[0:1], s[10:11]
	v_cndmask_b32_e32 v1, v21, v20, vcc_lo
	v_add_nc_u32_e32 v21, 0xfffffc10, v26
	scratch_load_b32 v26, off, off offset:16 ; 4-byte Folded Reload
	v_and_or_b32 v0, 0x8000, v17, v18
	v_lshrrev_b32_e32 v17, v24, v23
	v_and_b32_e32 v18, 7, v1
	v_lshrrev_b32_e32 v20, 16, v10
	v_add_co_u32 v3, vcc_lo, v3, s13
	s_delay_alu instid0(VALU_DEP_4) | instskip(SKIP_3) | instid1(VALU_DEP_4)
	v_lshlrev_b32_e32 v19, v24, v17
	v_add_co_ci_u32_e32 v4, vcc_lo, s12, v4, vcc_lo
	v_cmp_lt_i32_e32 vcc_lo, 5, v18
	v_cmp_eq_u32_e64 s0, 3, v18
	v_cmp_ne_u32_e64 s1, v19, v23
	v_lshrrev_b32_e32 v1, 2, v1
	v_mul_f64 v[15:16], v[15:16], s[10:11]
	v_and_b32_e32 v0, 0xffff, v0
	s_or_b32 vcc_lo, s0, vcc_lo
	v_cndmask_b32_e64 v19, 0, 1, s1
	v_add_co_ci_u32_e32 v1, vcc_lo, 0, v1, vcc_lo
	v_cmp_ne_u32_e32 vcc_lo, 0, v5
	v_lshl_or_b32 v23, v21, 12, v13
	s_delay_alu instid0(VALU_DEP_4) | instskip(SKIP_3) | instid1(VALU_DEP_2)
	v_or_b32_e32 v19, v17, v19
	v_lshl_or_b32 v24, v9, 16, v0
	v_cndmask_b32_e64 v5, 0, 1, vcc_lo
	v_cmp_gt_i32_e32 vcc_lo, 1, v21
	v_lshl_or_b32 v5, v5, 9, 0x7c00
	v_cndmask_b32_e32 v9, v23, v19, vcc_lo
	v_cmp_gt_i32_e32 vcc_lo, 31, v22
	v_and_or_b32 v11, 0x1ff, v12, v11
	s_delay_alu instid0(VALU_DEP_3)
	v_and_b32_e32 v23, 7, v9
	v_cndmask_b32_e32 v19, 0x7c00, v1, vcc_lo
	v_add_co_u32 v0, vcc_lo, v3, s13
	v_add_co_ci_u32_e32 v1, vcc_lo, s12, v4, vcc_lo
	v_cmp_eq_u32_e32 vcc_lo, 0x40f, v22
	v_cmp_ne_u32_e64 s0, 0, v11
	v_lshrrev_b32_e32 v11, 8, v12
	v_bfe_u32 v22, v12, 20, 11
	global_store_b32 v[3:4], v7, off
	global_store_b32 v[0:1], v24, off
	v_cndmask_b32_e32 v19, v19, v5, vcc_lo
	v_cmp_lt_i32_e32 vcc_lo, 5, v23
	v_cndmask_b32_e64 v5, 0, 1, s0
	v_cmp_eq_u32_e64 s0, 3, v23
	v_lshrrev_b32_e32 v23, 16, v6
	v_lshrrev_b32_e32 v6, 2, v9
	scratch_load_b32 v24, off, off          ; 4-byte Folded Reload
	v_and_or_b32 v11, 0xffe, v11, v5
	s_or_b32 vcc_lo, s0, vcc_lo
	v_sub_nc_u32_e32 v5, 0x3f1, v22
	v_add_co_ci_u32_e32 v6, vcc_lo, 0, v6, vcc_lo
	v_cmp_ne_u32_e32 vcc_lo, 0, v13
	v_or_b32_e32 v25, 0x1000, v11
	s_delay_alu instid0(VALU_DEP_4)
	v_med3_i32 v5, v5, 0, 13
	v_and_or_b32 v13, 0x1ff, v16, v15
	v_add_nc_u32_e32 v22, 0xfffffc10, v22
	v_and_or_b32 v19, 0x8000, v23, v19
	v_lshrrev_b32_e32 v12, 16, v12
	v_lshrrev_b32_e32 v15, v5, v25
	s_delay_alu instid0(VALU_DEP_3)
	v_and_b32_e32 v19, 0xffff, v19
	s_waitcnt vmcnt(2)
	v_mul_f16_e32 v18, v27, v20
	v_mul_f16_e32 v9, v27, v10
	v_lshlrev_b32_e32 v27, v5, v15
	s_waitcnt vmcnt(1)
	s_delay_alu instid0(VALU_DEP_3) | instskip(SKIP_3) | instid1(VALU_DEP_4)
	v_fmac_f16_e32 v18, v26, v10
	v_cndmask_b32_e64 v10, 0, 1, vcc_lo
	v_cmp_gt_i32_e32 vcc_lo, 31, v21
	v_fma_f16 v9, v26, v20, -v9
	v_cvt_f32_f16_e32 v17, v18
	s_delay_alu instid0(VALU_DEP_4)
	v_lshl_or_b32 v26, v10, 9, 0x7c00
	v_cndmask_b32_e32 v20, 0x7c00, v6, vcc_lo
	v_cmp_ne_u32_e32 vcc_lo, 0, v13
	v_cvt_f32_f16_e32 v9, v9
	v_cvt_f64_f32_e32 v[17:18], v17
	v_cndmask_b32_e64 v13, 0, 1, vcc_lo
	v_cmp_eq_u32_e32 vcc_lo, 0x40f, v21
	s_delay_alu instid0(VALU_DEP_4) | instskip(SKIP_3) | instid1(VALU_DEP_3)
	v_cvt_f64_f32_e32 v[9:10], v9
	v_cndmask_b32_e32 v20, v20, v26, vcc_lo
	v_cmp_ne_u32_e32 vcc_lo, v27, v25
	v_lshrrev_b32_e32 v26, 16, v2
	v_and_or_b32 v14, 0x8000, v14, v20
	v_cndmask_b32_e64 v21, 0, 1, vcc_lo
	v_cmp_gt_i32_e32 vcc_lo, 1, v22
	s_delay_alu instid0(VALU_DEP_3) | instskip(NEXT) | instid1(VALU_DEP_3)
	v_lshl_or_b32 v3, v14, 16, v19
	v_or_b32_e32 v15, v15, v21
	v_lshl_or_b32 v21, v22, 12, v11
	s_delay_alu instid0(VALU_DEP_1) | instskip(SKIP_1) | instid1(VALU_DEP_2)
	v_cndmask_b32_e32 v15, v21, v15, vcc_lo
	v_mul_f16_e32 v21, v29, v26
	v_and_b32_e32 v20, 7, v15
	s_delay_alu instid0(VALU_DEP_2) | instskip(SKIP_2) | instid1(VALU_DEP_4)
	v_fmac_f16_e32 v21, v28, v2
	v_lshrrev_b32_e32 v15, 2, v15
	v_mul_f16_e32 v2, v29, v2
	v_cmp_lt_i32_e32 vcc_lo, 5, v20
	s_delay_alu instid0(VALU_DEP_4)
	v_cvt_f32_f16_e32 v4, v21
	v_mul_f64 v[5:6], v[17:18], s[10:11]
	v_lshrrev_b32_e32 v17, 8, v16
	v_bfe_u32 v18, v16, 20, 11
	v_fma_f16 v2, v28, v26, -v2
	v_lshrrev_b32_e32 v16, 16, v16
	s_delay_alu instid0(VALU_DEP_4) | instskip(NEXT) | instid1(VALU_DEP_4)
	v_and_or_b32 v17, 0xffe, v17, v13
	v_sub_nc_u32_e32 v13, 0x3f1, v18
	v_add_nc_u32_e32 v18, 0xfffffc10, v18
	v_cvt_f32_f16_e32 v2, v2
	s_delay_alu instid0(VALU_DEP_4) | instskip(NEXT) | instid1(VALU_DEP_4)
	v_or_b32_e32 v25, 0x1000, v17
	v_med3_i32 v13, v13, 0, 13
	s_delay_alu instid0(VALU_DEP_1) | instskip(NEXT) | instid1(VALU_DEP_1)
	v_lshrrev_b32_e32 v27, v13, v25
	v_lshlrev_b32_e32 v13, v13, v27
	s_delay_alu instid0(VALU_DEP_1)
	v_cmp_ne_u32_e64 s0, v13, v25
	scratch_load_b32 v25, off, off offset:4 ; 4-byte Folded Reload
	v_cvt_f64_f32_e32 v[13:14], v4
	v_cndmask_b32_e64 v7, 0, 1, s0
	v_cmp_eq_u32_e64 s0, 3, v20
	v_lshl_or_b32 v20, v18, 12, v17
	s_delay_alu instid0(VALU_DEP_3) | instskip(SKIP_1) | instid1(VALU_DEP_4)
	v_or_b32_e32 v7, v27, v7
	v_and_or_b32 v19, 0x1ff, v6, v5
	s_or_b32 vcc_lo, s0, vcc_lo
	v_mul_f64 v[4:5], v[9:10], s[10:11]
	v_add_co_ci_u32_e32 v15, vcc_lo, 0, v15, vcc_lo
	s_delay_alu instid0(VALU_DEP_3) | instskip(SKIP_3) | instid1(VALU_DEP_4)
	v_cmp_ne_u32_e64 s1, 0, v19
	v_cmp_gt_i32_e32 vcc_lo, 1, v18
	v_lshrrev_b32_e32 v10, 8, v6
	v_bfe_u32 v19, v6, 20, 11
	v_cndmask_b32_e64 v9, 0, 1, s1
	v_cndmask_b32_e32 v7, v20, v7, vcc_lo
	v_cmp_ne_u32_e32 vcc_lo, 0, v11
	v_cmp_eq_u32_e64 s1, 0x40f, v22
	s_delay_alu instid0(VALU_DEP_4)
	v_and_or_b32 v20, 0xffe, v10, v9
	v_sub_nc_u32_e32 v9, 0x3f1, v19
	v_cndmask_b32_e64 v10, 0, 1, vcc_lo
	v_and_b32_e32 v11, 7, v7
	v_cmp_gt_i32_e32 vcc_lo, 31, v22
	v_or_b32_e32 v21, 0x1000, v20
	v_med3_i32 v9, v9, 0, 13
	v_lshrrev_b32_e32 v7, 2, v7
	v_cmp_eq_u32_e64 s0, 3, v11
	v_cndmask_b32_e32 v15, 0x7c00, v15, vcc_lo
	v_cmp_lt_i32_e32 vcc_lo, 5, v11
	v_lshl_or_b32 v10, v10, 9, 0x7c00
	v_lshrrev_b32_e32 v23, v9, v21
	s_or_b32 vcc_lo, s0, vcc_lo
	s_delay_alu instid0(VALU_DEP_2) | instskip(SKIP_1) | instid1(VALU_DEP_3)
	v_cndmask_b32_e64 v11, v15, v10, s1
	v_add_co_ci_u32_e32 v7, vcc_lo, 0, v7, vcc_lo
	v_lshlrev_b32_e32 v15, v9, v23
	v_cmp_ne_u32_e32 vcc_lo, 0, v17
	v_mul_f64 v[9:10], v[13:14], s[10:11]
	v_cndmask_b32_e64 v17, 0, 1, vcc_lo
	s_delay_alu instid0(VALU_DEP_4)
	v_cmp_ne_u32_e32 vcc_lo, v15, v21
	v_add_nc_u32_e32 v15, 0xfffffc10, v19
	v_and_or_b32 v4, 0x1ff, v5, v4
	v_and_or_b32 v19, 0x8000, v12, v11
	v_lshl_or_b32 v14, v17, 9, 0x7c00
	v_cndmask_b32_e64 v13, 0, 1, vcc_lo
	v_cmp_gt_i32_e32 vcc_lo, 31, v18
	v_lshl_or_b32 v17, v15, 12, v20
	v_cvt_f64_f32_e32 v[11:12], v2
	v_lshrrev_b32_e32 v21, 16, v8
	v_or_b32_e32 v13, v23, v13
	v_cndmask_b32_e32 v7, 0x7c00, v7, vcc_lo
	v_cmp_gt_i32_e32 vcc_lo, 1, v15
	v_bfe_u32 v2, v5, 20, 11
	v_and_b32_e32 v19, 0xffff, v19
	v_cndmask_b32_e32 v13, v17, v13, vcc_lo
	v_cmp_ne_u32_e32 vcc_lo, 0, v4
	v_lshrrev_b32_e32 v17, 8, v5
	v_cndmask_b32_e64 v4, 0, 1, vcc_lo
	v_cmp_eq_u32_e32 vcc_lo, 0x40f, v18
	s_delay_alu instid0(VALU_DEP_2) | instskip(SKIP_3) | instid1(VALU_DEP_4)
	v_and_or_b32 v4, 0xffe, v17, v4
	v_dual_cndmask_b32 v7, v7, v14 :: v_dual_and_b32 v14, 7, v13
	v_sub_nc_u32_e32 v17, 0x3f1, v2
	v_add_nc_u32_e32 v2, 0xfffffc10, v2
	v_or_b32_e32 v22, 0x1000, v4
	s_delay_alu instid0(VALU_DEP_4)
	v_and_or_b32 v16, 0x8000, v16, v7
	v_cmp_lt_i32_e32 vcc_lo, 5, v14
	v_cmp_eq_u32_e64 s0, 3, v14
	v_lshrrev_b32_e32 v7, 2, v13
	v_med3_i32 v17, v17, 0, 13
	v_and_or_b32 v9, 0x1ff, v10, v9
	v_lshl_or_b32 v16, v16, 16, v19
	s_or_b32 vcc_lo, s0, vcc_lo
	s_delay_alu instid0(VALU_DEP_3) | instskip(SKIP_2) | instid1(VALU_DEP_1)
	v_lshrrev_b32_e32 v23, v17, v22
	s_waitcnt vmcnt(0)
	v_mul_f16_e32 v18, v25, v21
	v_fmac_f16_e32 v18, v24, v8
	v_mul_f16_e32 v8, v25, v8
	s_delay_alu instid0(VALU_DEP_2) | instskip(SKIP_3) | instid1(VALU_DEP_4)
	v_cvt_f32_f16_e32 v13, v18
	v_add_co_ci_u32_e32 v18, vcc_lo, 0, v7, vcc_lo
	v_cmp_ne_u32_e32 vcc_lo, 0, v20
	v_lshlrev_b32_e32 v7, v17, v23
	v_cvt_f64_f32_e32 v[13:14], v13
	v_lshrrev_b32_e32 v20, 8, v10
	v_fma_f16 v8, v24, v21, -v8
	v_cndmask_b32_e64 v17, 0, 1, vcc_lo
	v_cmp_ne_u32_e32 vcc_lo, 0, v9
	s_delay_alu instid0(VALU_DEP_2) | instskip(SKIP_4) | instid1(VALU_DEP_4)
	v_lshl_or_b32 v17, v17, 9, 0x7c00
	v_cndmask_b32_e64 v9, 0, 1, vcc_lo
	v_cmp_ne_u32_e32 vcc_lo, v7, v22
	v_bfe_u32 v22, v10, 20, 11
	v_lshrrev_b32_e32 v10, 16, v10
	v_and_or_b32 v9, 0xffe, v20, v9
	v_cvt_f32_f16_e32 v20, v8
	v_cndmask_b32_e64 v21, 0, 1, vcc_lo
	v_mul_f64 v[7:8], v[11:12], s[10:11]
	v_sub_nc_u32_e32 v24, 0x3f1, v22
	v_cmp_gt_i32_e32 vcc_lo, 31, v15
	v_cvt_f64_f32_e32 v[11:12], v20
	v_or_b32_e32 v21, v23, v21
	v_lshl_or_b32 v23, v2, 12, v4
	v_or_b32_e32 v20, 0x1000, v9
	v_med3_i32 v24, v24, 0, 13
	v_cndmask_b32_e32 v18, 0x7c00, v18, vcc_lo
	v_cmp_gt_i32_e32 vcc_lo, 1, v2
	v_add_nc_u32_e32 v19, 0xfffffc10, v22
	s_delay_alu instid0(VALU_DEP_4) | instskip(SKIP_3) | instid1(VALU_DEP_4)
	v_lshrrev_b32_e32 v25, v24, v20
	v_cndmask_b32_e32 v21, v23, v21, vcc_lo
	v_add_co_u32 v0, vcc_lo, v0, s13
	v_add_co_ci_u32_e32 v1, vcc_lo, s12, v1, vcc_lo
	v_lshlrev_b32_e32 v23, v24, v25
	s_delay_alu instid0(VALU_DEP_4) | instskip(SKIP_2) | instid1(VALU_DEP_4)
	v_and_b32_e32 v24, 7, v21
	v_cmp_eq_u32_e32 vcc_lo, 0x40f, v15
	v_mul_f64 v[13:14], v[13:14], s[10:11]
	v_cmp_ne_u32_e64 s1, v23, v20
	s_delay_alu instid0(VALU_DEP_4)
	v_cmp_eq_u32_e64 s0, 3, v24
	v_cndmask_b32_e32 v15, v18, v17, vcc_lo
	v_cmp_lt_i32_e32 vcc_lo, 5, v24
	v_lshrrev_b32_e32 v17, 16, v6
	v_lshrrev_b32_e32 v6, 2, v21
	v_cndmask_b32_e64 v18, 0, 1, s1
	v_lshl_or_b32 v20, v19, 12, v9
	s_or_b32 vcc_lo, s0, vcc_lo
	v_and_or_b32 v15, 0x8000, v17, v15
	v_add_co_ci_u32_e32 v6, vcc_lo, 0, v6, vcc_lo
	v_cmp_ne_u32_e32 vcc_lo, 0, v4
	v_or_b32_e32 v18, v25, v18
	v_and_or_b32 v22, 0x1ff, v8, v7
	v_bfe_u32 v23, v8, 20, 11
	v_and_b32_e32 v15, 0xffff, v15
	v_cndmask_b32_e64 v4, 0, 1, vcc_lo
	v_cmp_gt_i32_e32 vcc_lo, 31, v2
	s_delay_alu instid0(VALU_DEP_2)
	v_lshl_or_b32 v4, v4, 9, 0x7c00
	v_cndmask_b32_e32 v21, 0x7c00, v6, vcc_lo
	v_mul_f64 v[6:7], v[11:12], s[10:11]
	v_add_co_u32 v11, vcc_lo, v0, s13
	v_add_co_ci_u32_e32 v12, vcc_lo, s12, v1, vcc_lo
	v_cmp_gt_i32_e32 vcc_lo, 1, v19
	v_cndmask_b32_e32 v18, v20, v18, vcc_lo
	v_cmp_ne_u32_e32 vcc_lo, 0, v22
	v_lshrrev_b32_e32 v22, 8, v8
	v_lshrrev_b32_e32 v8, 16, v8
	v_cndmask_b32_e64 v20, 0, 1, vcc_lo
	v_cmp_eq_u32_e32 vcc_lo, 0x40f, v2
	s_delay_alu instid0(VALU_DEP_2)
	v_and_or_b32 v20, 0xffe, v22, v20
	v_cndmask_b32_e32 v2, v21, v4, vcc_lo
	v_lshrrev_b32_e32 v4, 16, v5
	v_and_b32_e32 v5, 7, v18
	v_sub_nc_u32_e32 v21, 0x3f1, v23
	v_bfe_u32 v22, v14, 20, 11
	s_delay_alu instid0(VALU_DEP_4) | instskip(NEXT) | instid1(VALU_DEP_4)
	v_and_or_b32 v2, 0x8000, v4, v2
	v_cmp_lt_i32_e32 vcc_lo, 5, v5
	v_cmp_eq_u32_e64 s0, 3, v5
	v_and_or_b32 v5, 0x1ff, v14, v13
	v_lshrrev_b32_e32 v13, 2, v18
	v_or_b32_e32 v4, 0x1000, v20
	v_med3_i32 v17, v21, 0, 13
	s_or_b32 vcc_lo, s0, vcc_lo
	v_lshrrev_b32_e32 v21, 8, v14
	v_add_co_ci_u32_e32 v13, vcc_lo, 0, v13, vcc_lo
	s_delay_alu instid0(VALU_DEP_3)
	v_lshrrev_b32_e32 v18, v17, v4
	v_cmp_ne_u32_e32 vcc_lo, 0, v5
	v_and_or_b32 v6, 0x1ff, v7, v6
	v_lshrrev_b32_e32 v24, 8, v7
	v_bfe_u32 v25, v7, 20, 11
	v_lshlrev_b32_e32 v17, v17, v18
	v_cndmask_b32_e64 v5, 0, 1, vcc_lo
	v_cmp_ne_u32_e32 vcc_lo, 0, v9
	v_lshrrev_b32_e32 v7, 16, v7
	v_lshl_or_b32 v2, v2, 16, v15
	s_delay_alu instid0(VALU_DEP_4)
	v_and_or_b32 v5, 0xffe, v21, v5
	v_cndmask_b32_e64 v9, 0, 1, vcc_lo
	v_cmp_ne_u32_e32 vcc_lo, v17, v4
	v_sub_nc_u32_e32 v21, 0x3f1, v22
	v_add_nc_u32_e32 v17, 0xfffffc10, v23
	v_or_b32_e32 v23, 0x1000, v5
	v_lshl_or_b32 v9, v9, 9, 0x7c00
	v_cndmask_b32_e64 v4, 0, 1, vcc_lo
	v_cmp_gt_i32_e32 vcc_lo, 31, v19
	v_med3_i32 v21, v21, 0, 13
	s_delay_alu instid0(VALU_DEP_3)
	v_or_b32_e32 v4, v18, v4
	v_cndmask_b32_e32 v13, 0x7c00, v13, vcc_lo
	v_cmp_ne_u32_e32 vcc_lo, 0, v6
	v_lshl_or_b32 v18, v17, 12, v20
	v_lshrrev_b32_e32 v26, v21, v23
	v_cndmask_b32_e64 v6, 0, 1, vcc_lo
	v_cmp_gt_i32_e32 vcc_lo, 1, v17
	s_delay_alu instid0(VALU_DEP_2)
	v_and_or_b32 v6, 0xffe, v24, v6
	v_sub_nc_u32_e32 v24, 0x3f1, v25
	v_cndmask_b32_e32 v4, v18, v4, vcc_lo
	v_lshlrev_b32_e32 v18, v21, v26
	v_cmp_eq_u32_e32 vcc_lo, 0x40f, v19
	v_or_b32_e32 v21, 0x1000, v6
	v_med3_i32 v24, v24, 0, 13
	v_and_b32_e32 v27, 7, v4
	v_lshrrev_b32_e32 v4, 2, v4
	v_cndmask_b32_e32 v9, v13, v9, vcc_lo
	v_cmp_ne_u32_e32 vcc_lo, v18, v23
	v_add_nc_u32_e32 v18, 0xfffffc10, v22
	v_lshrrev_b32_e32 v19, v24, v21
	v_cmp_eq_u32_e64 s0, 3, v27
	v_and_or_b32 v9, 0x8000, v10, v9
	v_cndmask_b32_e64 v13, 0, 1, vcc_lo
	v_lshl_or_b32 v22, v18, 12, v5
	v_lshlrev_b32_e32 v23, v24, v19
	v_cmp_gt_i32_e64 s1, 1, v18
	v_cmp_lt_i32_e32 vcc_lo, 5, v27
	v_or_b32_e32 v13, v26, v13
	v_and_b32_e32 v9, 0xffff, v9
	s_or_b32 vcc_lo, s0, vcc_lo
	s_delay_alu instid0(VALU_DEP_2) | instskip(SKIP_3) | instid1(VALU_DEP_4)
	v_cndmask_b32_e64 v13, v22, v13, s1
	v_cmp_ne_u32_e64 s1, v23, v21
	v_add_nc_u32_e32 v22, 0xfffffc10, v25
	v_add_co_ci_u32_e32 v4, vcc_lo, 0, v4, vcc_lo
	v_and_b32_e32 v23, 7, v13
	s_delay_alu instid0(VALU_DEP_4)
	v_cndmask_b32_e64 v21, 0, 1, s1
	v_cmp_ne_u32_e32 vcc_lo, 0, v20
	v_cmp_gt_i32_e64 s0, 1, v22
	v_lshrrev_b32_e32 v13, 2, v13
	v_cmp_gt_i32_e64 s1, 31, v17
	v_or_b32_e32 v19, v19, v21
	v_lshl_or_b32 v21, v22, 12, v6
	v_cndmask_b32_e64 v20, 0, 1, vcc_lo
	v_cmp_lt_i32_e32 vcc_lo, 5, v23
	v_cndmask_b32_e64 v4, 0x7c00, v4, s1
	v_cmp_eq_u32_e64 s1, 0x40f, v17
	v_cndmask_b32_e64 v10, v21, v19, s0
	v_cmp_eq_u32_e64 s0, 3, v23
	v_lshl_or_b32 v19, v20, 9, 0x7c00
	s_delay_alu instid0(VALU_DEP_3) | instskip(NEXT) | instid1(VALU_DEP_3)
	v_and_b32_e32 v20, 7, v10
	s_or_b32 vcc_lo, s0, vcc_lo
	v_lshrrev_b32_e32 v10, 2, v10
	v_add_co_ci_u32_e32 v13, vcc_lo, 0, v13, vcc_lo
	v_cmp_ne_u32_e32 vcc_lo, 0, v5
	v_cmp_eq_u32_e64 s0, 3, v20
	v_cndmask_b32_e64 v4, v4, v19, s1
	v_cmp_gt_i32_e64 s1, 31, v18
	v_cndmask_b32_e64 v5, 0, 1, vcc_lo
	v_cmp_lt_i32_e32 vcc_lo, 5, v20
	s_delay_alu instid0(VALU_DEP_4) | instskip(NEXT) | instid1(VALU_DEP_4)
	v_and_or_b32 v8, 0x8000, v8, v4
	v_cndmask_b32_e64 v13, 0x7c00, v13, s1
	s_delay_alu instid0(VALU_DEP_4)
	v_lshl_or_b32 v5, v5, 9, 0x7c00
	s_or_b32 vcc_lo, s0, vcc_lo
	v_add_co_ci_u32_e32 v10, vcc_lo, 0, v10, vcc_lo
	v_cmp_ne_u32_e32 vcc_lo, 0, v6
	v_cndmask_b32_e64 v6, 0, 1, vcc_lo
	v_cmp_eq_u32_e32 vcc_lo, 0x40f, v18
	s_delay_alu instid0(VALU_DEP_2)
	v_lshl_or_b32 v6, v6, 9, 0x7c00
	v_cndmask_b32_e32 v5, v13, v5, vcc_lo
	v_cmp_gt_i32_e32 vcc_lo, 31, v22
	v_lshrrev_b32_e32 v13, 16, v14
	v_cndmask_b32_e32 v10, 0x7c00, v10, vcc_lo
	v_cmp_eq_u32_e32 vcc_lo, 0x40f, v22
	s_delay_alu instid0(VALU_DEP_3) | instskip(NEXT) | instid1(VALU_DEP_3)
	v_and_or_b32 v13, 0x8000, v13, v5
	v_cndmask_b32_e32 v6, v10, v6, vcc_lo
	v_add_co_u32 v4, vcc_lo, v11, s13
	v_add_co_ci_u32_e32 v5, vcc_lo, s12, v12, vcc_lo
	v_lshl_or_b32 v10, v8, 16, v9
	s_delay_alu instid0(VALU_DEP_4) | instskip(SKIP_3) | instid1(VALU_DEP_3)
	v_and_or_b32 v8, 0x8000, v7, v6
	v_and_b32_e32 v9, 0xffff, v13
	v_add_co_u32 v6, vcc_lo, v4, s13
	v_add_co_ci_u32_e32 v7, vcc_lo, s12, v5, vcc_lo
	v_lshl_or_b32 v13, v8, 16, v9
	s_delay_alu instid0(VALU_DEP_3) | instskip(NEXT) | instid1(VALU_DEP_3)
	v_add_co_u32 v8, vcc_lo, v6, s13
	v_add_co_ci_u32_e32 v9, vcc_lo, s12, v7, vcc_lo
	global_store_b32 v[0:1], v3, off
	global_store_b32 v[11:12], v16, off
	;; [unrolled: 1-line block ×5, first 2 shown]
.LBB0_2:
	s_nop 0
	s_sendmsg sendmsg(MSG_DEALLOC_VGPRS)
	s_endpgm
	.section	.rodata,"a",@progbits
	.p2align	6, 0x0
	.amdhsa_kernel bluestein_single_back_len3000_dim1_half_op_CI_CI
		.amdhsa_group_segment_fixed_size 12000
		.amdhsa_private_segment_fixed_size 304
		.amdhsa_kernarg_size 104
		.amdhsa_user_sgpr_count 15
		.amdhsa_user_sgpr_dispatch_ptr 0
		.amdhsa_user_sgpr_queue_ptr 0
		.amdhsa_user_sgpr_kernarg_segment_ptr 1
		.amdhsa_user_sgpr_dispatch_id 0
		.amdhsa_user_sgpr_private_segment_size 0
		.amdhsa_wavefront_size32 1
		.amdhsa_uses_dynamic_stack 0
		.amdhsa_enable_private_segment 1
		.amdhsa_system_sgpr_workgroup_id_x 1
		.amdhsa_system_sgpr_workgroup_id_y 0
		.amdhsa_system_sgpr_workgroup_id_z 0
		.amdhsa_system_sgpr_workgroup_info 0
		.amdhsa_system_vgpr_workitem_id 0
		.amdhsa_next_free_vgpr 256
		.amdhsa_next_free_sgpr 20
		.amdhsa_reserve_vcc 1
		.amdhsa_float_round_mode_32 0
		.amdhsa_float_round_mode_16_64 0
		.amdhsa_float_denorm_mode_32 3
		.amdhsa_float_denorm_mode_16_64 3
		.amdhsa_dx10_clamp 1
		.amdhsa_ieee_mode 1
		.amdhsa_fp16_overflow 0
		.amdhsa_workgroup_processor_mode 1
		.amdhsa_memory_ordered 1
		.amdhsa_forward_progress 0
		.amdhsa_shared_vgpr_count 0
		.amdhsa_exception_fp_ieee_invalid_op 0
		.amdhsa_exception_fp_denorm_src 0
		.amdhsa_exception_fp_ieee_div_zero 0
		.amdhsa_exception_fp_ieee_overflow 0
		.amdhsa_exception_fp_ieee_underflow 0
		.amdhsa_exception_fp_ieee_inexact 0
		.amdhsa_exception_int_div_zero 0
	.end_amdhsa_kernel
	.text
.Lfunc_end0:
	.size	bluestein_single_back_len3000_dim1_half_op_CI_CI, .Lfunc_end0-bluestein_single_back_len3000_dim1_half_op_CI_CI
                                        ; -- End function
	.section	.AMDGPU.csdata,"",@progbits
; Kernel info:
; codeLenInByte = 59048
; NumSgprs: 22
; NumVgprs: 256
; ScratchSize: 304
; MemoryBound: 0
; FloatMode: 240
; IeeeMode: 1
; LDSByteSize: 12000 bytes/workgroup (compile time only)
; SGPRBlocks: 2
; VGPRBlocks: 31
; NumSGPRsForWavesPerEU: 22
; NumVGPRsForWavesPerEU: 256
; Occupancy: 5
; WaveLimiterHint : 1
; COMPUTE_PGM_RSRC2:SCRATCH_EN: 1
; COMPUTE_PGM_RSRC2:USER_SGPR: 15
; COMPUTE_PGM_RSRC2:TRAP_HANDLER: 0
; COMPUTE_PGM_RSRC2:TGID_X_EN: 1
; COMPUTE_PGM_RSRC2:TGID_Y_EN: 0
; COMPUTE_PGM_RSRC2:TGID_Z_EN: 0
; COMPUTE_PGM_RSRC2:TIDIG_COMP_CNT: 0
	.text
	.p2alignl 7, 3214868480
	.fill 96, 4, 3214868480
	.type	__hip_cuid_e8af431067535c99,@object ; @__hip_cuid_e8af431067535c99
	.section	.bss,"aw",@nobits
	.globl	__hip_cuid_e8af431067535c99
__hip_cuid_e8af431067535c99:
	.byte	0                               ; 0x0
	.size	__hip_cuid_e8af431067535c99, 1

	.ident	"AMD clang version 19.0.0git (https://github.com/RadeonOpenCompute/llvm-project roc-6.4.0 25133 c7fe45cf4b819c5991fe208aaa96edf142730f1d)"
	.section	".note.GNU-stack","",@progbits
	.addrsig
	.addrsig_sym __hip_cuid_e8af431067535c99
	.amdgpu_metadata
---
amdhsa.kernels:
  - .args:
      - .actual_access:  read_only
        .address_space:  global
        .offset:         0
        .size:           8
        .value_kind:     global_buffer
      - .actual_access:  read_only
        .address_space:  global
        .offset:         8
        .size:           8
        .value_kind:     global_buffer
      - .actual_access:  read_only
        .address_space:  global
        .offset:         16
        .size:           8
        .value_kind:     global_buffer
      - .actual_access:  read_only
        .address_space:  global
        .offset:         24
        .size:           8
        .value_kind:     global_buffer
      - .actual_access:  read_only
        .address_space:  global
        .offset:         32
        .size:           8
        .value_kind:     global_buffer
      - .offset:         40
        .size:           8
        .value_kind:     by_value
      - .address_space:  global
        .offset:         48
        .size:           8
        .value_kind:     global_buffer
      - .address_space:  global
        .offset:         56
        .size:           8
        .value_kind:     global_buffer
      - .address_space:  global
        .offset:         64
        .size:           8
        .value_kind:     global_buffer
      - .address_space:  global
        .offset:         72
        .size:           8
        .value_kind:     global_buffer
      - .offset:         80
        .size:           4
        .value_kind:     by_value
      - .address_space:  global
        .offset:         88
        .size:           8
        .value_kind:     global_buffer
      - .address_space:  global
        .offset:         96
        .size:           8
        .value_kind:     global_buffer
    .group_segment_fixed_size: 12000
    .kernarg_segment_align: 8
    .kernarg_segment_size: 104
    .language:       OpenCL C
    .language_version:
      - 2
      - 0
    .max_flat_workgroup_size: 100
    .name:           bluestein_single_back_len3000_dim1_half_op_CI_CI
    .private_segment_fixed_size: 304
    .sgpr_count:     22
    .sgpr_spill_count: 0
    .symbol:         bluestein_single_back_len3000_dim1_half_op_CI_CI.kd
    .uniform_work_group_size: 1
    .uses_dynamic_stack: false
    .vgpr_count:     256
    .vgpr_spill_count: 75
    .wavefront_size: 32
    .workgroup_processor_mode: 1
amdhsa.target:   amdgcn-amd-amdhsa--gfx1100
amdhsa.version:
  - 1
  - 2
...

	.end_amdgpu_metadata
